;; amdgpu-corpus repo=ROCm/rocFFT kind=compiled arch=gfx950 opt=O3
	.text
	.amdgcn_target "amdgcn-amd-amdhsa--gfx950"
	.amdhsa_code_object_version 6
	.protected	bluestein_single_back_len910_dim1_sp_op_CI_CI ; -- Begin function bluestein_single_back_len910_dim1_sp_op_CI_CI
	.globl	bluestein_single_back_len910_dim1_sp_op_CI_CI
	.p2align	8
	.type	bluestein_single_back_len910_dim1_sp_op_CI_CI,@function
bluestein_single_back_len910_dim1_sp_op_CI_CI: ; @bluestein_single_back_len910_dim1_sp_op_CI_CI
; %bb.0:
	s_load_dwordx4 s[4:7], s[0:1], 0x28
	v_mul_u32_u24_e32 v1, 0x2d1, v0
	v_lshrrev_b32_e32 v1, 16, v1
	v_mov_b32_e32 v67, 0
	v_lshl_add_u32 v68, s2, 1, v1
	v_mov_b32_e32 v69, v67
	s_waitcnt lgkmcnt(0)
	v_cmp_gt_u64_e32 vcc, s[4:5], v[68:69]
	s_and_saveexec_b64 s[2:3], vcc
	s_cbranch_execz .LBB0_25
; %bb.1:
	s_load_dwordx2 s[12:13], s[0:1], 0x0
	s_load_dwordx2 s[14:15], s[0:1], 0x38
	v_mul_lo_u16_e32 v2, 0x5b, v1
	v_sub_u16_e32 v66, v0, v2
	v_and_b32_e32 v0, 1, v1
	v_mov_b32_e32 v1, 0x38e
	v_cmp_eq_u32_e32 vcc, 1, v0
	s_movk_i32 s2, 0x46
	v_cmp_gt_u16_e64 s[4:5], s2, v66
	v_cndmask_b32_e32 v134, 0, v1, vcc
	v_lshlrev_b32_e32 v70, 3, v66
	v_lshlrev_b32_e32 v69, 3, v134
	s_and_saveexec_b64 s[2:3], s[4:5]
	s_cbranch_execz .LBB0_3
; %bb.2:
	s_load_dwordx2 s[8:9], s[0:1], 0x18
	v_mov_b32_e32 v0, s6
	v_mov_b32_e32 v1, s7
	;; [unrolled: 1-line block ×4, first 2 shown]
	s_waitcnt lgkmcnt(0)
	s_load_dwordx4 s[8:11], s[8:9], 0x0
	v_lshl_add_u64 v[20:21], s[12:13], 0, v[70:71]
	v_lshl_add_u32 v54, v66, 3, v69
	v_add_u32_e32 v55, v69, v70
	s_waitcnt lgkmcnt(0)
	v_mad_u64_u32 v[2:3], s[6:7], s10, v68, 0
	v_mad_u64_u32 v[4:5], s[6:7], s8, v66, 0
	v_mov_b32_e32 v6, v3
	v_mov_b32_e32 v8, v5
	v_mad_u64_u32 v[6:7], s[6:7], s11, v68, v[6:7]
	v_mov_b32_e32 v3, v6
	v_mad_u64_u32 v[6:7], s[6:7], s9, v66, v[8:9]
	v_mov_b32_e32 v5, v6
	v_lshl_add_u64 v[0:1], v[2:3], 3, v[0:1]
	v_lshl_add_u64 v[0:1], v[4:5], 3, v[0:1]
	global_load_dwordx2 v[2:3], v[0:1], off
	s_mulk_i32 s9, 0x230
	v_mad_u64_u32 v[0:1], s[6:7], s8, v52, v[0:1]
	v_add_u32_e32 v1, s9, v1
	global_load_dwordx2 v[4:5], v70, s[12:13]
	global_load_dwordx2 v[6:7], v70, s[12:13] offset:560
	global_load_dwordx2 v[8:9], v70, s[12:13] offset:1120
	;; [unrolled: 1-line block ×7, first 2 shown]
	global_load_dwordx2 v[22:23], v[0:1], off
	v_mad_u64_u32 v[0:1], s[6:7], s8, v52, v[0:1]
	v_add_u32_e32 v1, s9, v1
	global_load_dwordx2 v[24:25], v[0:1], off
	v_mad_u64_u32 v[0:1], s[6:7], s8, v52, v[0:1]
	v_add_u32_e32 v1, s9, v1
	;; [unrolled: 3-line block ×6, first 2 shown]
	s_movk_i32 s10, 0x1000
	global_load_dwordx2 v[34:35], v[0:1], off
	v_mad_u64_u32 v[0:1], s[6:7], s8, v52, v[0:1]
	v_add_co_u32_e32 v20, vcc, s10, v20
	v_add_u32_e32 v1, s9, v1
	s_nop 0
	v_addc_co_u32_e32 v21, vcc, 0, v21, vcc
	global_load_dwordx2 v[36:37], v[0:1], off
	global_load_dwordx2 v[38:39], v[20:21], off offset:384
	v_mad_u64_u32 v[0:1], s[6:7], s8, v52, v[0:1]
	v_add_u32_e32 v1, s9, v1
	global_load_dwordx2 v[40:41], v[0:1], off
	global_load_dwordx2 v[42:43], v[20:21], off offset:944
	v_mad_u64_u32 v[0:1], s[6:7], s8, v52, v[0:1]
	v_add_u32_e32 v1, s9, v1
	global_load_dwordx2 v[44:45], v[0:1], off
	global_load_dwordx2 v[46:47], v[20:21], off offset:1504
	global_load_dwordx2 v[48:49], v[20:21], off offset:2064
	;; [unrolled: 1-line block ×3, first 2 shown]
	v_mad_u64_u32 v[0:1], s[6:7], s8, v52, v[0:1]
	v_add_u32_e32 v1, s9, v1
	global_load_dwordx2 v[20:21], v[0:1], off
	v_mad_u64_u32 v[0:1], s[6:7], s8, v52, v[0:1]
	v_add_u32_e32 v1, s9, v1
	global_load_dwordx2 v[0:1], v[0:1], off
	s_waitcnt vmcnt(24)
	v_mul_f32_e32 v53, v2, v5
	v_mul_f32_e32 v52, v3, v5
	v_fma_f32 v53, v3, v4, -v53
	v_fmac_f32_e32 v52, v2, v4
	ds_write_b64 v54, v[52:53]
	s_waitcnt vmcnt(16)
	v_mul_f32_e32 v2, v23, v7
	v_mul_f32_e32 v3, v22, v7
	v_fmac_f32_e32 v2, v22, v6
	v_fma_f32 v3, v23, v6, -v3
	s_waitcnt vmcnt(15)
	v_mul_f32_e32 v4, v25, v9
	v_mul_f32_e32 v5, v24, v9
	v_fmac_f32_e32 v4, v24, v8
	v_fma_f32 v5, v25, v8, -v5
	ds_write2_b64 v55, v[2:3], v[4:5] offset0:70 offset1:140
	s_waitcnt vmcnt(14)
	v_mul_f32_e32 v2, v27, v11
	v_mul_f32_e32 v3, v26, v11
	v_fmac_f32_e32 v2, v26, v10
	s_waitcnt vmcnt(13)
	v_mul_f32_e32 v4, v29, v13
	v_mul_f32_e32 v5, v28, v13
	v_fma_f32 v3, v27, v10, -v3
	v_fmac_f32_e32 v4, v28, v12
	v_fma_f32 v5, v29, v12, -v5
	v_add_u32_e32 v6, 0x400, v55
	ds_write2_b64 v6, v[2:3], v[4:5] offset0:82 offset1:152
	s_waitcnt vmcnt(12)
	v_mul_f32_e32 v2, v31, v15
	v_mul_f32_e32 v3, v30, v15
	s_waitcnt vmcnt(11)
	v_mul_f32_e32 v4, v33, v17
	v_mul_f32_e32 v5, v32, v17
	v_fmac_f32_e32 v2, v30, v14
	v_fma_f32 v3, v31, v14, -v3
	v_fmac_f32_e32 v4, v32, v16
	v_fma_f32 v5, v33, v16, -v5
	v_add_u32_e32 v6, 0x800, v55
	ds_write2_b64 v6, v[2:3], v[4:5] offset0:94 offset1:164
	s_waitcnt vmcnt(10)
	v_mul_f32_e32 v2, v35, v19
	v_mul_f32_e32 v3, v34, v19
	v_fmac_f32_e32 v2, v34, v18
	v_fma_f32 v3, v35, v18, -v3
	s_waitcnt vmcnt(8)
	v_mul_f32_e32 v4, v37, v39
	v_mul_f32_e32 v5, v36, v39
	v_fmac_f32_e32 v4, v36, v38
	v_fma_f32 v5, v37, v38, -v5
	v_add_u32_e32 v6, 0xc00, v55
	ds_write2_b64 v6, v[2:3], v[4:5] offset0:106 offset1:176
	s_waitcnt vmcnt(6)
	v_mul_f32_e32 v2, v41, v43
	v_mul_f32_e32 v3, v40, v43
	s_waitcnt vmcnt(4)
	v_mul_f32_e32 v4, v45, v47
	v_mul_f32_e32 v5, v44, v47
	v_fmac_f32_e32 v2, v40, v42
	v_fma_f32 v3, v41, v42, -v3
	v_fmac_f32_e32 v4, v44, v46
	v_fma_f32 v5, v45, v46, -v5
	v_add_u32_e32 v6, 0x1000, v55
	ds_write2_b64 v6, v[2:3], v[4:5] offset0:118 offset1:188
	s_waitcnt vmcnt(0)
	v_mul_f32_e32 v4, v1, v51
	v_mul_f32_e32 v2, v21, v49
	;; [unrolled: 1-line block ×3, first 2 shown]
	v_fmac_f32_e32 v4, v0, v50
	v_mul_f32_e32 v0, v0, v51
	v_fmac_f32_e32 v2, v20, v48
	v_fma_f32 v3, v21, v48, -v3
	v_fma_f32 v5, v1, v50, -v0
	v_add_u32_e32 v0, 0x1800, v55
	ds_write2_b64 v0, v[2:3], v[4:5] offset0:2 offset1:72
.LBB0_3:
	s_or_b64 exec, exec, s[2:3]
	s_load_dwordx2 s[2:3], s[0:1], 0x20
	s_load_dwordx2 s[6:7], s[0:1], 0x8
	v_mov_b64_e32 v[0:1], 0
	s_waitcnt lgkmcnt(0)
	s_barrier
	s_waitcnt lgkmcnt(0)
                                        ; implicit-def: $vgpr6
                                        ; implicit-def: $vgpr12
                                        ; implicit-def: $vgpr10
                                        ; implicit-def: $vgpr20
                                        ; implicit-def: $vgpr18
                                        ; implicit-def: $vgpr46
	s_and_saveexec_b64 s[0:1], s[4:5]
	s_cbranch_execz .LBB0_5
; %bb.4:
	v_lshl_add_u32 v24, v134, 3, v70
	v_add_u32_e32 v4, 0x800, v24
	v_add_u32_e32 v12, 0x1000, v24
	;; [unrolled: 1-line block ×3, first 2 shown]
	ds_read2_b64 v[0:3], v24 offset1:70
	ds_read2_b64 v[16:19], v24 offset0:140 offset1:210
	ds_read2_b64 v[8:11], v4 offset0:24 offset1:94
	;; [unrolled: 1-line block ×5, first 2 shown]
	ds_read_b64 v[46:47], v24 offset:6720
.LBB0_5:
	s_or_b64 exec, exec, s[0:1]
	s_waitcnt lgkmcnt(0)
	v_pk_add_f32 v[34:35], v[2:3], v[46:47] neg_lo:[0,1] neg_hi:[0,1]
	s_mov_b32 s30, 0xbf7e222b
	v_pk_add_f32 v[32:33], v[46:47], v[2:3]
	v_pk_add_f32 v[36:37], v[16:17], v[22:23] neg_lo:[0,1] neg_hi:[0,1]
	s_mov_b32 s0, 0x3df6dbef
	v_pk_mul_f32 v[24:25], v[34:35], s[30:31] op_sel_hi:[1,0]
	s_mov_b32 s16, 0xbe750f2a
	v_pk_add_f32 v[30:31], v[22:23], v[16:17]
	v_pk_fma_f32 v[52:53], v[32:33], s[0:1], v[24:25] op_sel:[0,0,1] op_sel_hi:[1,0,0]
	v_pk_fma_f32 v[54:55], v[32:33], s[0:1], v[24:25] op_sel:[0,0,1] op_sel_hi:[1,0,0] neg_lo:[0,0,1] neg_hi:[0,0,1]
	s_mov_b32 s10, 0xbf788fa5
	v_pk_mul_f32 v[40:41], v[36:37], s[16:17] op_sel_hi:[1,0]
	v_mov_b32_e32 v24, v52
	v_mov_b32_e32 v25, v55
	v_pk_fma_f32 v[56:57], v[30:31], s[10:11], v[40:41] op_sel:[0,0,1] op_sel_hi:[1,0,0]
	v_pk_fma_f32 v[58:59], v[30:31], s[10:11], v[40:41] op_sel:[0,0,1] op_sel_hi:[1,0,0] neg_lo:[0,0,1] neg_hi:[0,0,1]
	v_pk_add_f32 v[38:39], v[18:19], v[20:21] neg_lo:[0,1] neg_hi:[0,1]
	v_pk_add_f32 v[24:25], v[24:25], v[0:1]
	v_mov_b32_e32 v40, v56
	v_mov_b32_e32 v41, v59
	s_mov_b32 s18, 0x3f6f5d39
	v_pk_add_f32 v[28:29], v[20:21], v[18:19]
	v_pk_add_f32 v[24:25], v[40:41], v[24:25]
	s_mov_b32 s8, 0xbeb58ec6
	v_pk_mul_f32 v[40:41], v[38:39], s[18:19] op_sel_hi:[1,0]
	v_pk_add_f32 v[42:43], v[8:9], v[14:15] neg_lo:[0,1] neg_hi:[0,1]
	v_pk_fma_f32 v[62:63], v[28:29], s[8:9], v[40:41] op_sel:[0,0,1] op_sel_hi:[1,0,0]
	v_pk_fma_f32 v[64:65], v[28:29], s[8:9], v[40:41] op_sel:[0,0,1] op_sel_hi:[1,0,0] neg_lo:[0,0,1] neg_hi:[0,0,1]
	v_mov_b32_e32 v40, v62
	v_mov_b32_e32 v41, v65
	s_mov_b32 s22, 0x3eedf032
	v_pk_add_f32 v[26:27], v[14:15], v[8:9]
	v_pk_add_f32 v[24:25], v[40:41], v[24:25]
	s_mov_b32 s18, 0x3f62ad3f
	v_pk_mul_f32 v[40:41], v[42:43], s[22:23] op_sel_hi:[1,0]
	s_mov_b32 s20, 0xbeedf032
	v_pk_fma_f32 v[72:73], v[26:27], s[18:19], v[40:41] op_sel:[0,0,1] op_sel_hi:[1,0,0]
	v_pk_fma_f32 v[74:75], v[26:27], s[18:19], v[40:41] op_sel:[0,0,1] op_sel_hi:[1,0,0] neg_lo:[0,0,1] neg_hi:[0,0,1]
	v_mov_b32_e32 v40, v72
	v_mov_b32_e32 v41, v75
	v_pk_add_f32 v[24:25], v[40:41], v[24:25]
	v_pk_mul_f32 v[40:41], v[34:35], s[20:21] op_sel_hi:[1,0]
	s_mov_b32 s34, 0xbf52af12
	v_pk_fma_f32 v[78:79], v[32:33], s[18:19], v[40:41] op_sel:[0,0,1] op_sel_hi:[1,0,0]
	v_pk_fma_f32 v[80:81], v[32:33], s[18:19], v[40:41] op_sel:[0,0,1] op_sel_hi:[1,0,0] neg_lo:[0,0,1] neg_hi:[0,0,1]
	s_mov_b32 s20, 0x3f116cb1
	v_pk_mul_f32 v[44:45], v[36:37], s[34:35] op_sel_hi:[1,0]
	v_mov_b32_e32 v40, v78
	v_mov_b32_e32 v41, v81
	v_pk_fma_f32 v[82:83], v[30:31], s[20:21], v[44:45] op_sel:[0,0,1] op_sel_hi:[1,0,0]
	v_pk_fma_f32 v[84:85], v[30:31], s[20:21], v[44:45] op_sel:[0,0,1] op_sel_hi:[1,0,0] neg_lo:[0,0,1] neg_hi:[0,0,1]
	v_mov_b32_e32 v44, v82
	v_mov_b32_e32 v45, v85
	v_pk_add_f32 v[40:41], v[40:41], v[0:1]
	s_mov_b32 s28, 0xbf6f5d39
	v_pk_add_f32 v[40:41], v[44:45], v[40:41]
	v_pk_mul_f32 v[44:45], v[38:39], s[30:31] op_sel_hi:[1,0]
	s_mov_b32 s36, 0xbf29c268
	v_pk_fma_f32 v[86:87], v[28:29], s[0:1], v[44:45] op_sel:[0,0,1] op_sel_hi:[1,0,0]
	v_pk_fma_f32 v[88:89], v[28:29], s[0:1], v[44:45] op_sel:[0,0,1] op_sel_hi:[1,0,0] neg_lo:[0,0,1] neg_hi:[0,0,1]
	v_mov_b32_e32 v44, v86
	v_mov_b32_e32 v45, v89
	v_pk_add_f32 v[40:41], v[44:45], v[40:41]
	v_pk_mul_f32 v[44:45], v[42:43], s[28:29] op_sel_hi:[1,0]
	v_pk_add_f32 v[50:51], v[10:11], v[12:13] neg_lo:[0,1] neg_hi:[0,1]
	v_pk_fma_f32 v[90:91], v[26:27], s[8:9], v[44:45] op_sel:[0,0,1] op_sel_hi:[1,0,0]
	v_pk_fma_f32 v[96:97], v[26:27], s[8:9], v[44:45] op_sel:[0,0,1] op_sel_hi:[1,0,0] neg_lo:[0,0,1] neg_hi:[0,0,1]
	v_mov_b32_e32 v44, v90
	v_mov_b32_e32 v45, v97
	v_pk_add_f32 v[40:41], v[44:45], v[40:41]
	s_mov_b32 s26, 0xbf3f9e67
	v_pk_add_f32 v[48:49], v[12:13], v[10:11]
	v_pk_mul_f32 v[44:45], v[50:51], s[36:37] op_sel_hi:[1,0]
	s_mov_b32 s40, 0x3f29c268
	v_pk_fma_f32 v[102:103], v[48:49], s[26:27], v[44:45] op_sel:[0,0,1] op_sel_hi:[1,0,0]
	v_pk_fma_f32 v[104:105], v[48:49], s[26:27], v[44:45] op_sel:[0,0,1] op_sel_hi:[1,0,0] neg_lo:[0,0,1] neg_hi:[0,0,1]
	v_mov_b32_e32 v44, v102
	v_mov_b32_e32 v45, v105
	v_pk_add_f32 v[136:137], v[44:45], v[40:41]
	v_pk_mul_f32 v[40:41], v[34:35], s[34:35] op_sel_hi:[1,0]
	v_pk_mul_f32 v[44:45], v[36:37], s[28:29] op_sel_hi:[1,0]
	v_pk_fma_f32 v[92:93], v[32:33], s[20:21], v[40:41] op_sel:[0,0,1] op_sel_hi:[1,0,0]
	v_pk_fma_f32 v[94:95], v[32:33], s[20:21], v[40:41] op_sel:[0,0,1] op_sel_hi:[1,0,0] neg_lo:[0,0,1] neg_hi:[0,0,1]
	v_mov_b32_e32 v40, v92
	v_mov_b32_e32 v41, v95
	v_pk_fma_f32 v[98:99], v[30:31], s[8:9], v[44:45] op_sel:[0,0,1] op_sel_hi:[1,0,0]
	v_pk_fma_f32 v[100:101], v[30:31], s[8:9], v[44:45] op_sel:[0,0,1] op_sel_hi:[1,0,0] neg_lo:[0,0,1] neg_hi:[0,0,1]
	v_mov_b32_e32 v44, v98
	v_mov_b32_e32 v45, v101
	v_pk_add_f32 v[40:41], v[40:41], v[0:1]
	s_mov_b32 s38, 0x3f7e222b
	v_pk_add_f32 v[40:41], v[44:45], v[40:41]
	v_pk_mul_f32 v[44:45], v[38:39], s[16:17] op_sel_hi:[1,0]
	v_pk_add_f32 v[76:77], v[4:5], v[6:7] neg_lo:[0,1] neg_hi:[0,1]
	v_pk_fma_f32 v[110:111], v[28:29], s[10:11], v[44:45] op_sel:[0,0,1] op_sel_hi:[1,0,0]
	v_pk_fma_f32 v[112:113], v[28:29], s[10:11], v[44:45] op_sel:[0,0,1] op_sel_hi:[1,0,0] neg_lo:[0,0,1] neg_hi:[0,0,1]
	v_mov_b32_e32 v44, v110
	v_mov_b32_e32 v45, v113
	v_pk_add_f32 v[40:41], v[44:45], v[40:41]
	v_pk_mul_f32 v[44:45], v[42:43], s[40:41] op_sel_hi:[1,0]
	v_pk_add_f32 v[60:61], v[6:7], v[4:5]
	v_pk_fma_f32 v[114:115], v[26:27], s[26:27], v[44:45] op_sel:[0,0,1] op_sel_hi:[1,0,0]
	v_pk_fma_f32 v[116:117], v[26:27], s[26:27], v[44:45] op_sel:[0,0,1] op_sel_hi:[1,0,0] neg_lo:[0,0,1] neg_hi:[0,0,1]
	v_mov_b32_e32 v44, v114
	v_mov_b32_e32 v45, v117
	v_pk_add_f32 v[40:41], v[44:45], v[40:41]
	v_pk_mul_f32 v[44:45], v[50:51], s[38:39] op_sel_hi:[1,0]
	v_mul_lo_u16_e32 v199, 13, v66
	v_pk_fma_f32 v[122:123], v[48:49], s[0:1], v[44:45] op_sel:[0,0,1] op_sel_hi:[1,0,0]
	v_pk_fma_f32 v[124:125], v[48:49], s[0:1], v[44:45] op_sel:[0,0,1] op_sel_hi:[1,0,0] neg_lo:[0,0,1] neg_hi:[0,0,1]
	v_mov_b32_e32 v44, v122
	v_mov_b32_e32 v45, v125
	v_pk_add_f32 v[40:41], v[44:45], v[40:41]
	v_pk_mul_f32 v[44:45], v[50:51], s[34:35] op_sel_hi:[1,0]
	s_nop 0
	v_pk_fma_f32 v[106:107], v[48:49], s[20:21], v[44:45] op_sel:[0,0,1] op_sel_hi:[1,0,0]
	v_pk_fma_f32 v[108:109], v[48:49], s[20:21], v[44:45] op_sel:[0,0,1] op_sel_hi:[1,0,0] neg_lo:[0,0,1] neg_hi:[0,0,1]
	v_mov_b32_e32 v44, v106
	v_mov_b32_e32 v45, v109
	v_pk_add_f32 v[24:25], v[44:45], v[24:25]
	v_pk_mul_f32 v[44:45], v[76:77], s[22:23] op_sel_hi:[1,0]
	s_barrier
	v_pk_fma_f32 v[126:127], v[60:61], s[18:19], v[44:45] op_sel:[0,0,1] op_sel_hi:[1,0,0]
	v_pk_fma_f32 v[128:129], v[60:61], s[18:19], v[44:45] op_sel:[0,0,1] op_sel_hi:[1,0,0] neg_lo:[0,0,1] neg_hi:[0,0,1]
	v_mov_b32_e32 v44, v126
	v_mov_b32_e32 v45, v129
	v_pk_add_f32 v[40:41], v[44:45], v[40:41]
	v_pk_mul_f32 v[44:45], v[76:77], s[36:37] op_sel_hi:[1,0]
	s_nop 0
	v_pk_fma_f32 v[118:119], v[60:61], s[26:27], v[44:45] op_sel:[0,0,1] op_sel_hi:[1,0,0]
	v_pk_fma_f32 v[120:121], v[60:61], s[26:27], v[44:45] op_sel:[0,0,1] op_sel_hi:[1,0,0] neg_lo:[0,0,1] neg_hi:[0,0,1]
	v_mov_b32_e32 v44, v118
	v_mov_b32_e32 v45, v121
	v_pk_add_f32 v[44:45], v[44:45], v[24:25]
	v_pk_mul_f32 v[24:25], v[76:77], s[16:17] op_sel_hi:[1,0]
	s_nop 0
	v_pk_fma_f32 v[130:131], v[60:61], s[10:11], v[24:25] op_sel:[0,0,1] op_sel_hi:[1,0,0]
	v_pk_fma_f32 v[132:133], v[60:61], s[10:11], v[24:25] op_sel:[0,0,1] op_sel_hi:[1,0,0] neg_lo:[0,0,1] neg_hi:[0,0,1]
	v_mov_b32_e32 v24, v130
	v_mov_b32_e32 v25, v133
	v_pk_add_f32 v[24:25], v[24:25], v[136:137]
	s_and_saveexec_b64 s[24:25], s[4:5]
	s_cbranch_execz .LBB0_7
; %bb.6:
	v_pk_add_f32 v[2:3], v[2:3], v[0:1]
	v_mov_b32_e32 v81, v79
	v_pk_add_f32 v[2:3], v[16:17], v[2:3]
	v_mov_b32_e32 v85, v83
	;; [unrolled: 2-line block ×5, first 2 shown]
	v_pk_add_f32 v[2:3], v[4:5], v[2:3]
	v_pk_add_f32 v[4:5], v[80:81], v[0:1]
	;; [unrolled: 1-line block ×11, first 2 shown]
	v_mov_b32_e32 v133, v131
	v_add_lshl_u32 v71, v134, v199, 3
	v_pk_add_f32 v[2:3], v[46:47], v[2:3]
	v_pk_add_f32 v[4:5], v[132:133], v[4:5]
	v_mov_b32_e32 v95, v93
	v_mov_b32_e32 v55, v53
	ds_write2_b64 v71, v[2:3], v[4:5] offset1:1
	v_pk_add_f32 v[2:3], v[94:95], v[0:1]
	v_mov_b32_e32 v101, v99
	v_pk_add_f32 v[4:5], v[54:55], v[0:1]
	v_mov_b32_e32 v59, v57
	;; [unrolled: 2-line block ×10, first 2 shown]
	v_pk_add_f32 v[2:3], v[128:129], v[2:3]
	v_pk_add_f32 v[4:5], v[120:121], v[4:5]
	ds_write2_b64 v71, v[2:3], v[4:5] offset0:2 offset1:3
	v_pk_mul_f32 v[2:3], v[34:35], s[28:29] op_sel_hi:[1,0]
	v_pk_mul_f32 v[4:5], v[36:37], s[40:41] op_sel_hi:[1,0]
	v_pk_fma_f32 v[14:15], v[32:33], s[8:9], v[2:3] op_sel:[0,0,1] op_sel_hi:[1,0,0] neg_lo:[0,0,1] neg_hi:[0,0,1]
	v_pk_fma_f32 v[2:3], v[32:33], s[8:9], v[2:3] op_sel:[0,0,1] op_sel_hi:[1,0,0]
	v_mov_b32_e32 v16, v14
	v_mov_b32_e32 v17, v3
	v_pk_fma_f32 v[18:19], v[30:31], s[26:27], v[4:5] op_sel:[0,0,1] op_sel_hi:[1,0,0] neg_lo:[0,0,1] neg_hi:[0,0,1]
	v_pk_fma_f32 v[4:5], v[30:31], s[26:27], v[4:5] op_sel:[0,0,1] op_sel_hi:[1,0,0]
	v_pk_mul_f32 v[6:7], v[38:39], s[22:23] op_sel_hi:[1,0]
	v_pk_add_f32 v[16:17], v[16:17], v[0:1]
	v_mov_b32_e32 v20, v18
	v_mov_b32_e32 v21, v5
	v_pk_add_f32 v[16:17], v[20:21], v[16:17]
	v_pk_fma_f32 v[20:21], v[28:29], s[18:19], v[6:7] op_sel:[0,0,1] op_sel_hi:[1,0,0] neg_lo:[0,0,1] neg_hi:[0,0,1]
	v_pk_fma_f32 v[6:7], v[28:29], s[18:19], v[6:7] op_sel:[0,0,1] op_sel_hi:[1,0,0]
	v_pk_mul_f32 v[8:9], v[42:43], s[30:31] op_sel_hi:[1,0]
	v_mov_b32_e32 v22, v20
	v_mov_b32_e32 v23, v7
	s_mov_b32 s30, 0x3e750f2a
	v_pk_add_f32 v[16:17], v[22:23], v[16:17]
	v_pk_fma_f32 v[22:23], v[26:27], s[0:1], v[8:9] op_sel:[0,0,1] op_sel_hi:[1,0,0] neg_lo:[0,0,1] neg_hi:[0,0,1]
	v_pk_fma_f32 v[8:9], v[26:27], s[0:1], v[8:9] op_sel:[0,0,1] op_sel_hi:[1,0,0]
	v_pk_mul_f32 v[10:11], v[50:51], s[30:31] op_sel_hi:[1,0]
	v_mov_b32_e32 v46, v22
	v_mov_b32_e32 v47, v9
	s_mov_b32 s40, 0x3f52af12
	v_pk_add_f32 v[16:17], v[46:47], v[16:17]
	v_pk_fma_f32 v[46:47], v[48:49], s[10:11], v[10:11] op_sel:[0,0,1] op_sel_hi:[1,0,0] neg_lo:[0,0,1] neg_hi:[0,0,1]
	v_pk_fma_f32 v[10:11], v[48:49], s[10:11], v[10:11] op_sel:[0,0,1] op_sel_hi:[1,0,0]
	v_pk_mul_f32 v[12:13], v[76:77], s[40:41] op_sel_hi:[1,0]
	v_mov_b32_e32 v52, v46
	v_mov_b32_e32 v53, v11
	v_pk_add_f32 v[16:17], v[52:53], v[16:17]
	v_pk_fma_f32 v[52:53], v[60:61], s[20:21], v[12:13] op_sel:[0,0,1] op_sel_hi:[1,0,0] neg_lo:[0,0,1] neg_hi:[0,0,1]
	v_pk_fma_f32 v[12:13], v[60:61], s[20:21], v[12:13] op_sel:[0,0,1] op_sel_hi:[1,0,0]
	v_mov_b32_e32 v54, v52
	v_mov_b32_e32 v55, v13
	v_pk_add_f32 v[16:17], v[54:55], v[16:17]
	v_pk_mul_f32 v[54:55], v[34:35], s[36:37] op_sel_hi:[1,0]
	v_pk_mul_f32 v[56:57], v[36:37], s[38:39] op_sel_hi:[1,0]
	v_pk_fma_f32 v[74:75], v[32:33], s[26:27], v[54:55] op_sel:[0,0,1] op_sel_hi:[1,0,0] neg_lo:[0,0,1] neg_hi:[0,0,1]
	v_pk_fma_f32 v[54:55], v[32:33], s[26:27], v[54:55] op_sel:[0,0,1] op_sel_hi:[1,0,0]
	v_mov_b32_e32 v78, v74
	v_mov_b32_e32 v79, v55
	v_pk_fma_f32 v[80:81], v[30:31], s[0:1], v[56:57] op_sel:[0,0,1] op_sel_hi:[1,0,0] neg_lo:[0,0,1] neg_hi:[0,0,1]
	v_pk_fma_f32 v[56:57], v[30:31], s[0:1], v[56:57] op_sel:[0,0,1] op_sel_hi:[1,0,0]
	v_pk_mul_f32 v[58:59], v[38:39], s[34:35] op_sel_hi:[1,0]
	v_pk_add_f32 v[78:79], v[78:79], v[0:1]
	v_mov_b32_e32 v82, v80
	v_mov_b32_e32 v83, v57
	v_pk_add_f32 v[78:79], v[82:83], v[78:79]
	v_pk_fma_f32 v[82:83], v[28:29], s[20:21], v[58:59] op_sel:[0,0,1] op_sel_hi:[1,0,0] neg_lo:[0,0,1] neg_hi:[0,0,1]
	v_pk_fma_f32 v[58:59], v[28:29], s[20:21], v[58:59] op_sel:[0,0,1] op_sel_hi:[1,0,0]
	v_pk_mul_f32 v[62:63], v[42:43], s[30:31] op_sel_hi:[1,0]
	v_mov_b32_e32 v84, v82
	v_mov_b32_e32 v85, v59
	v_pk_add_f32 v[78:79], v[84:85], v[78:79]
	v_pk_fma_f32 v[84:85], v[26:27], s[10:11], v[62:63] op_sel:[0,0,1] op_sel_hi:[1,0,0] neg_lo:[0,0,1] neg_hi:[0,0,1]
	v_pk_fma_f32 v[62:63], v[26:27], s[10:11], v[62:63] op_sel:[0,0,1] op_sel_hi:[1,0,0]
	v_pk_mul_f32 v[64:65], v[50:51], s[22:23] op_sel_hi:[1,0]
	;; [unrolled: 6-line block ×3, first 2 shown]
	v_mov_b32_e32 v88, v86
	v_mov_b32_e32 v89, v65
	v_pk_add_f32 v[78:79], v[88:89], v[78:79]
	v_pk_fma_f32 v[88:89], v[60:61], s[8:9], v[72:73] op_sel:[0,0,1] op_sel_hi:[1,0,0] neg_lo:[0,0,1] neg_hi:[0,0,1]
	v_pk_fma_f32 v[72:73], v[60:61], s[8:9], v[72:73] op_sel:[0,0,1] op_sel_hi:[1,0,0]
	v_mov_b32_e32 v90, v88
	v_mov_b32_e32 v91, v73
	v_pk_add_f32 v[78:79], v[90:91], v[78:79]
	ds_write2_b64 v71, v[16:17], v[78:79] offset0:4 offset1:5
	v_pk_mul_f32 v[16:17], v[34:35], s[16:17] op_sel_hi:[1,0]
	v_pk_mul_f32 v[34:35], v[36:37], s[22:23] op_sel_hi:[1,0]
	v_pk_mul_f32 v[36:37], v[38:39], s[36:37] op_sel_hi:[1,0]
	v_pk_mul_f32 v[38:39], v[42:43], s[40:41] op_sel_hi:[1,0]
	v_pk_mul_f32 v[42:43], v[50:51], s[28:29] op_sel_hi:[1,0]
	v_pk_mul_f32 v[50:51], v[76:77], s[38:39] op_sel_hi:[1,0]
	v_pk_fma_f32 v[76:77], v[32:33], s[10:11], v[16:17] op_sel:[0,0,1] op_sel_hi:[1,0,0] neg_lo:[0,0,1] neg_hi:[0,0,1]
	v_pk_fma_f32 v[16:17], v[32:33], s[10:11], v[16:17] op_sel:[0,0,1] op_sel_hi:[1,0,0]
	v_mov_b32_e32 v32, v76
	v_mov_b32_e32 v33, v17
	v_pk_fma_f32 v[78:79], v[30:31], s[18:19], v[34:35] op_sel:[0,0,1] op_sel_hi:[1,0,0] neg_lo:[0,0,1] neg_hi:[0,0,1]
	v_pk_fma_f32 v[30:31], v[30:31], s[18:19], v[34:35] op_sel:[0,0,1] op_sel_hi:[1,0,0]
	v_pk_add_f32 v[32:33], v[32:33], v[0:1]
	v_mov_b32_e32 v34, v78
	v_mov_b32_e32 v35, v31
	v_pk_add_f32 v[32:33], v[34:35], v[32:33]
	v_pk_fma_f32 v[34:35], v[28:29], s[26:27], v[36:37] op_sel:[0,0,1] op_sel_hi:[1,0,0] neg_lo:[0,0,1] neg_hi:[0,0,1]
	v_pk_fma_f32 v[28:29], v[28:29], s[26:27], v[36:37] op_sel:[0,0,1] op_sel_hi:[1,0,0]
	v_mov_b32_e32 v36, v34
	v_mov_b32_e32 v37, v29
	v_pk_add_f32 v[32:33], v[36:37], v[32:33]
	v_pk_fma_f32 v[36:37], v[26:27], s[20:21], v[38:39] op_sel:[0,0,1] op_sel_hi:[1,0,0] neg_lo:[0,0,1] neg_hi:[0,0,1]
	v_pk_fma_f32 v[26:27], v[26:27], s[20:21], v[38:39] op_sel:[0,0,1] op_sel_hi:[1,0,0]
	v_mov_b32_e32 v17, v77
	v_mov_b32_e32 v38, v36
	;; [unrolled: 1-line block ×3, first 2 shown]
	v_pk_add_f32 v[16:17], v[16:17], v[0:1]
	v_mov_b32_e32 v31, v79
	v_pk_add_f32 v[32:33], v[38:39], v[32:33]
	v_pk_fma_f32 v[38:39], v[48:49], s[8:9], v[42:43] op_sel:[0,0,1] op_sel_hi:[1,0,0] neg_lo:[0,0,1] neg_hi:[0,0,1]
	v_pk_fma_f32 v[42:43], v[48:49], s[8:9], v[42:43] op_sel:[0,0,1] op_sel_hi:[1,0,0]
	v_pk_add_f32 v[16:17], v[30:31], v[16:17]
	v_mov_b32_e32 v29, v35
	v_mov_b32_e32 v48, v38
	;; [unrolled: 1-line block ×3, first 2 shown]
	v_pk_add_f32 v[16:17], v[28:29], v[16:17]
	v_mov_b32_e32 v27, v37
	v_pk_add_f32 v[32:33], v[48:49], v[32:33]
	v_pk_fma_f32 v[48:49], v[60:61], s[0:1], v[50:51] op_sel:[0,0,1] op_sel_hi:[1,0,0] neg_lo:[0,0,1] neg_hi:[0,0,1]
	v_pk_fma_f32 v[50:51], v[60:61], s[0:1], v[50:51] op_sel:[0,0,1] op_sel_hi:[1,0,0]
	v_pk_add_f32 v[16:17], v[26:27], v[16:17]
	v_mov_b32_e32 v43, v39
	v_mov_b32_e32 v60, v48
	v_mov_b32_e32 v61, v51
	v_pk_add_f32 v[16:17], v[42:43], v[16:17]
	v_mov_b32_e32 v51, v49
	v_pk_add_f32 v[32:33], v[60:61], v[32:33]
	v_pk_add_f32 v[16:17], v[50:51], v[16:17]
	v_mov_b32_e32 v55, v75
	v_mov_b32_e32 v3, v15
	ds_write2_b64 v71, v[32:33], v[16:17] offset0:6 offset1:7
	v_pk_add_f32 v[16:17], v[54:55], v[0:1]
	v_mov_b32_e32 v57, v81
	v_pk_add_f32 v[0:1], v[2:3], v[0:1]
	v_mov_b32_e32 v5, v19
	;; [unrolled: 2-line block ×10, first 2 shown]
	v_pk_add_f32 v[16:17], v[72:73], v[16:17]
	v_pk_add_f32 v[0:1], v[12:13], v[0:1]
	ds_write2_b64 v71, v[16:17], v[0:1] offset0:8 offset1:9
	ds_write2_b64 v71, v[44:45], v[40:41] offset0:10 offset1:11
	ds_write_b64 v71, v[24:25] offset:96
.LBB0_7:
	s_or_b64 exec, exec, s[24:25]
	s_mov_b64 s[0:1], 0x5b
	v_lshl_add_u64 v[48:49], v[66:67], 0, s[0:1]
	s_mov_b64 s[0:1], 0xb6
	v_lshl_add_u64 v[0:1], v[66:67], 0, s[0:1]
	;; [unrolled: 2-line block ×4, first 2 shown]
	s_movk_i32 s0, 0x4f
	v_mul_lo_u16_sdwa v5, v48, s0 dst_sel:DWORD dst_unused:UNUSED_PAD src0_sel:BYTE_0 src1_sel:DWORD
	v_lshrrev_b16_e32 v22, 10, v5
	v_mul_lo_u16_sdwa v1, v66, s0 dst_sel:DWORD dst_unused:UNUSED_PAD src0_sel:BYTE_0 src1_sel:DWORD
	v_mul_lo_u16_e32 v5, 13, v22
	s_movk_i32 s0, 0x4ec5
	v_sub_u16_e32 v23, v48, v5
	v_mul_u32_u24_sdwa v5, v0, s0 dst_sel:DWORD dst_unused:UNUSED_PAD src0_sel:WORD_0 src1_sel:DWORD
	v_lshrrev_b32_e32 v26, 18, v5
	v_mul_lo_u16_e32 v5, 13, v26
	v_sub_u16_e32 v27, v0, v5
	v_mul_u32_u24_sdwa v5, v2, s0 dst_sel:DWORD dst_unused:UNUSED_PAD src0_sel:WORD_0 src1_sel:DWORD
	v_lshrrev_b32_e32 v34, 18, v5
	v_mul_lo_u16_e32 v5, 13, v34
	v_lshlrev_b32_e32 v0, 3, v27
	v_sub_u16_e32 v35, v2, v5
	s_load_dwordx4 s[8:11], s[2:3], 0x0
	s_waitcnt lgkmcnt(0)
	s_barrier
	v_lshlrev_b32_e32 v2, 3, v35
	global_load_dwordx2 v[74:75], v0, s[6:7]
	global_load_dwordx2 v[78:79], v2, s[6:7]
	v_mul_u32_u24_sdwa v0, v4, s0 dst_sel:DWORD dst_unused:UNUSED_PAD src0_sel:WORD_0 src1_sel:DWORD
	v_lshrrev_b16_e32 v20, 10, v1
	v_lshrrev_b32_e32 v36, 18, v0
	v_mul_lo_u16_e32 v1, 13, v20
	v_mul_lo_u16_e32 v0, 13, v36
	v_sub_u16_e32 v21, v66, v1
	v_mov_b32_e32 v1, 3
	v_sub_u16_e32 v37, v4, v0
	v_lshlrev_b32_sdwa v3, v1, v21 dst_sel:DWORD dst_unused:UNUSED_PAD src0_sel:DWORD src1_sel:BYTE_0
	v_lshlrev_b32_e32 v0, 3, v37
	global_load_dwordx2 v[72:73], v3, s[6:7]
	global_load_dwordx2 v[80:81], v0, s[6:7]
	v_lshlrev_b32_sdwa v0, v1, v23 dst_sel:DWORD dst_unused:UNUSED_PAD src0_sel:DWORD src1_sel:BYTE_0
	global_load_dwordx2 v[76:77], v0, s[6:7]
	v_add_lshl_u32 v67, v134, v66, 3
	v_add_u32_e32 v4, 0x400, v67
	v_add_u32_e32 v8, 0x1400, v67
	;; [unrolled: 1-line block ×4, first 2 shown]
	ds_read2_b64 v[0:3], v67 offset1:91
	ds_read2_b64 v[4:7], v4 offset0:54 offset1:145
	ds_read2_b64 v[8:11], v8 offset0:88 offset1:179
	;; [unrolled: 1-line block ×4, first 2 shown]
	v_mul_u32_u24_e32 v20, 26, v20
	v_mul_u32_u24_e32 v22, 26, v22
	v_add_u32_sdwa v20, v20, v21 dst_sel:DWORD dst_unused:UNUSED_PAD src0_sel:DWORD src1_sel:BYTE_0
	v_add_lshl_u32 v200, v134, v20, 3
	v_add_u32_sdwa v20, v22, v23 dst_sel:DWORD dst_unused:UNUSED_PAD src0_sel:DWORD src1_sel:BYTE_0
	v_mad_legacy_u16 v21, v26, 26, v27
	v_add_lshl_u32 v202, v134, v20, 3
	v_add_lshl_u32 v201, v134, v21, 3
	s_waitcnt lgkmcnt(0)
	s_barrier
	v_cmp_gt_u16_e64 s[2:3], 39, v66
	v_cmp_lt_u16_e32 vcc, 38, v66
                                        ; implicit-def: $vgpr56
                                        ; implicit-def: $vgpr52_vgpr53
                                        ; implicit-def: $vgpr54_vgpr55
	s_waitcnt vmcnt(4)
	v_pk_mul_f32 v[28:29], v[18:19], v[74:75] op_sel:[0,1]
	s_waitcnt vmcnt(3)
	v_pk_mul_f32 v[22:23], v[8:9], v[78:79] op_sel:[0,1]
	;; [unrolled: 2-line block ×4, first 2 shown]
	v_pk_fma_f32 v[32:33], v[14:15], v[72:73], v[20:21] op_sel:[0,0,1] op_sel_hi:[1,1,0] neg_lo:[0,0,1] neg_hi:[0,0,1]
	s_waitcnt vmcnt(0)
	v_pk_mul_f32 v[30:31], v[16:17], v[76:77] op_sel:[0,1]
	v_pk_fma_f32 v[14:15], v[14:15], v[72:73], v[20:21] op_sel:[0,0,1] op_sel_hi:[1,0,0]
	v_pk_fma_f32 v[20:21], v[8:9], v[78:79], v[22:23] op_sel:[0,0,1] op_sel_hi:[1,0,0]
	v_pk_fma_f32 v[8:9], v[8:9], v[78:79], v[22:23] op_sel:[0,0,1] op_sel_hi:[1,0,0] neg_lo:[0,0,1] neg_hi:[0,0,1]
	v_pk_fma_f32 v[22:23], v[10:11], v[80:81], v[26:27] op_sel:[0,0,1] op_sel_hi:[1,1,0] neg_lo:[0,0,1] neg_hi:[0,0,1]
	v_pk_fma_f32 v[10:11], v[10:11], v[80:81], v[26:27] op_sel:[0,0,1] op_sel_hi:[1,0,0]
	v_pk_fma_f32 v[26:27], v[18:19], v[74:75], v[28:29] op_sel:[0,0,1] op_sel_hi:[1,1,0] neg_lo:[0,0,1] neg_hi:[0,0,1]
	v_pk_fma_f32 v[18:19], v[18:19], v[74:75], v[28:29] op_sel:[0,0,1] op_sel_hi:[1,0,0]
	;; [unrolled: 2-line block ×3, first 2 shown]
	v_mov_b32_e32 v33, v15
	v_mov_b32_e32 v9, v21
	;; [unrolled: 1-line block ×4, first 2 shown]
	v_pk_add_f32 v[14:15], v[0:1], v[32:33] neg_lo:[0,1] neg_hi:[0,1]
	v_mov_b32_e32 v23, v11
	v_pk_add_f32 v[38:39], v[6:7], v[8:9] neg_lo:[0,1] neg_hi:[0,1]
	v_pk_add_f32 v[8:9], v[4:5], v[26:27] neg_lo:[0,1] neg_hi:[0,1]
	;; [unrolled: 1-line block ×3, first 2 shown]
	v_pk_fma_f32 v[0:1], v[0:1], 2.0, v[14:15] op_sel_hi:[1,0,1] neg_lo:[0,0,1] neg_hi:[0,0,1]
	v_pk_fma_f32 v[2:3], v[2:3], 2.0, v[10:11] op_sel_hi:[1,0,1] neg_lo:[0,0,1] neg_hi:[0,0,1]
	ds_write2_b64 v200, v[0:1], v[14:15] offset1:13
	ds_write2_b64 v202, v[2:3], v[10:11] offset1:13
	v_pk_fma_f32 v[0:1], v[4:5], 2.0, v[8:9] op_sel_hi:[1,0,1] neg_lo:[0,0,1] neg_hi:[0,0,1]
	ds_write2_b64 v201, v[0:1], v[8:9] offset1:13
	v_mad_legacy_u16 v0, v34, 26, v35
	v_add_lshl_u32 v203, v134, v0, 3
	v_pk_fma_f32 v[0:1], v[6:7], 2.0, v[38:39] op_sel_hi:[1,0,1] neg_lo:[0,0,1] neg_hi:[0,0,1]
	v_pk_add_f32 v[42:43], v[12:13], v[22:23] neg_lo:[0,1] neg_hi:[0,1]
	ds_write2_b64 v203, v[0:1], v[38:39] offset1:13
	v_mad_legacy_u16 v0, v36, 26, v37
	v_add_lshl_u32 v204, v134, v0, 3
	v_pk_fma_f32 v[0:1], v[12:13], 2.0, v[42:43] op_sel_hi:[1,0,1] neg_lo:[0,0,1] neg_hi:[0,0,1]
	ds_write2_b64 v204, v[0:1], v[42:43] offset1:13
	s_waitcnt lgkmcnt(0)
	s_barrier
	ds_read2_b64 v[26:29], v67 offset1:130
	ds_read2_b64 v[30:33], v46 offset0:4 offset1:134
	ds_read2_b64 v[34:37], v47 offset0:8 offset1:138
	ds_read_b64 v[50:51], v67 offset:6240
                                        ; implicit-def: $vgpr46_vgpr47
	s_and_saveexec_b64 s[0:1], vcc
	s_xor_b64 s[0:1], exec, s[0:1]
; %bb.8:
	v_mov_b32_e32 v46, v44
	v_mov_b32_e32 v47, v1
	;; [unrolled: 1-line block ×6, first 2 shown]
; %bb.9:
	s_andn2_saveexec_b64 s[0:1], s[0:1]
	s_cbranch_execz .LBB0_11
; %bb.10:
	v_add_u32_e32 v0, 0x800, v67
	ds_read2_b64 v[42:45], v0 offset0:95 offset1:225
	ds_read2_b64 v[38:41], v67 offset0:91 offset1:221
	v_add_u32_e32 v2, 0x1000, v67
	ds_read_b64 v[0:1], v67 offset:6968
	ds_read2_b64 v[22:25], v2 offset0:99 offset1:229
	s_waitcnt lgkmcnt(3)
	v_mov_b32_e32 v46, v44
	s_waitcnt lgkmcnt(2)
	v_mov_b32_e32 v47, v41
	v_mov_b32_e32 v54, v45
	v_mov_b32_e32 v55, v40
	s_waitcnt lgkmcnt(0)
	v_mov_b32_e32 v40, v22
	v_mov_b32_e32 v41, v1
	;; [unrolled: 1-line block ×5, first 2 shown]
.LBB0_11:
	s_or_b64 exec, exec, s[0:1]
	s_movk_i32 s16, 0x4f
	v_mul_lo_u16_sdwa v0, v66, s16 dst_sel:DWORD dst_unused:UNUSED_PAD src0_sel:BYTE_0 src1_sel:DWORD
	v_lshrrev_b16_e32 v71, 11, v0
	v_mul_lo_u16_e32 v0, 26, v71
	v_sub_u16_e32 v0, v66, v0
	v_and_b32_e32 v107, 0xff, v0
	v_mad_u64_u32 v[0:1], s[0:1], v107, 48, s[6:7]
	global_load_dwordx4 v[12:15], v[0:1], off offset:136
	global_load_dwordx4 v[20:23], v[0:1], off offset:120
	;; [unrolled: 1-line block ×3, first 2 shown]
	v_mul_lo_u16_sdwa v0, v48, s16 dst_sel:DWORD dst_unused:UNUSED_PAD src0_sel:BYTE_0 src1_sel:DWORD
	v_lshrrev_b16_e32 v197, 11, v0
	v_mul_lo_u16_e32 v0, 26, v197
	v_sub_u16_e32 v0, v48, v0
	v_and_b32_e32 v198, 0xff, v0
	v_mad_u64_u32 v[44:45], s[0:1], v198, 48, s[6:7]
	global_load_dwordx4 v[8:11], v[44:45], off offset:120
	global_load_dwordx4 v[0:3], v[44:45], off offset:104
	;; [unrolled: 1-line block ×3, first 2 shown]
	v_mov_b32_e32 v64, v43
	v_mov_b32_e32 v65, v46
	;; [unrolled: 1-line block ×10, first 2 shown]
	s_mov_b32 s22, 0x3d64c772
	s_mov_b32 s23, 0x3f4a47b2
	s_mov_b32 s24, s23
	s_mov_b32 s25, s22
	s_mov_b32 s26, 0x3eae86e6
	s_mov_b32 s20, 0x3f955555
	s_mov_b32 s27, 0xbf08b237
	s_mov_b32 s28, s27
	s_mov_b32 s29, s26
	s_mov_b32 s18, 0x3f3bfb3b
	s_mov_b32 s16, 0x3f5ff5aa
	s_mov_b32 s0, 0x3ee1c552
	s_waitcnt lgkmcnt(0)
	s_barrier
	s_waitcnt vmcnt(5)
	v_mul_f32_e32 v86, v37, v13
	s_waitcnt vmcnt(4)
	v_mul_f32_e32 v59, v35, v22
	v_mul_f32_e32 v61, v34, v23
	s_waitcnt vmcnt(3)
	v_mul_f32_e32 v84, v31, v19
	v_fma_f32 v84, v30, v18, -v84
	v_mul_f32_e32 v85, v33, v20
	v_mul_f32_e32 v87, v32, v21
	v_fma_f32 v86, v36, v12, -v86
	s_waitcnt vmcnt(2)
	v_mov_b32_e32 v82, v11
	v_mov_b32_e32 v83, v10
	s_waitcnt vmcnt(1)
	v_pk_mul_f32 v[10:11], v[46:47], v[0:1]
	s_waitcnt vmcnt(0)
	v_mul_f32_e32 v88, v24, v5
	v_mov_b32_e32 v10, v3
	v_pk_mul_f32 v[90:91], v[40:41], v[6:7]
	v_mov_b32_e32 v94, v9
	v_mov_b32_e32 v95, v1
	;; [unrolled: 1-line block ×15, first 2 shown]
	v_pk_mul_f32 v[10:11], v[42:43], v[10:11]
	v_fmac_f32_e32 v88, v56, v4
	v_mov_b32_e32 v42, v91
	v_pk_mul_f32 v[54:55], v[54:55], v[94:95]
	v_pk_mul_f32 v[64:65], v[64:65], v[98:99]
	v_mov_b32_e32 v91, v83
	v_mov_b32_e32 v102, v83
	v_pk_mul_f32 v[56:57], v[56:57], v[100:101]
	v_pk_mul_f32 v[52:53], v[52:53], v[104:105]
	v_pk_fma_f32 v[94:95], v[44:45], v[0:1], v[106:107] neg_lo:[0,0,1] neg_hi:[0,0,1]
	v_pk_fma_f32 v[98:99], v[46:47], v[92:93], v[54:55]
	v_pk_fma_f32 v[46:47], v[46:47], v[92:93], v[54:55] neg_lo:[0,0,1] neg_hi:[0,0,1]
	v_pk_fma_f32 v[44:45], v[44:45], v[8:9], v[64:65] op_sel:[0,1,0] op_sel_hi:[1,0,1]
	v_pk_fma_f32 v[54:55], v[62:63], v[96:97], v[64:65] neg_lo:[0,0,1] neg_hi:[0,0,1]
	v_pk_fma_f32 v[64:65], v[24:25], v[82:83], v[56:57]
	v_pk_fma_f32 v[24:25], v[24:25], v[90:91], v[56:57] neg_lo:[0,0,1] neg_hi:[0,0,1]
	v_pk_fma_f32 v[56:57], v[40:41], v[102:103], v[52:53]
	;; [unrolled: 2-line block ×3, first 2 shown]
	v_pk_fma_f32 v[42:43], v[60:61], v[6:7], v[42:43] neg_lo:[0,0,1] neg_hi:[0,0,1]
	v_mov_b32_e32 v47, v99
	v_mov_b32_e32 v55, v45
	;; [unrolled: 1-line block ×4, first 2 shown]
	v_pk_add_f32 v[62:63], v[94:95], v[42:43]
	v_add_f32_e32 v43, v10, v88
	v_mov_b32_e32 v90, v57
	v_mov_b32_e32 v89, v24
	v_pk_add_f32 v[56:57], v[46:47], v[40:41]
	v_pk_add_f32 v[24:25], v[54:55], v[24:25]
	v_mov_b32_e32 v52, v99
	v_mov_b32_e32 v53, v94
	;; [unrolled: 1-line block ×10, first 2 shown]
	v_pk_add_f32 v[46:47], v[56:57], v[24:25] neg_lo:[0,1] neg_hi:[0,1]
	v_mov_b32_e32 v24, v62
	v_mov_b32_e32 v57, v43
	v_pk_add_f32 v[52:53], v[52:53], v[90:91] neg_lo:[0,1] neg_hi:[0,1]
	v_pk_add_f32 v[10:11], v[10:11], v[88:89] neg_lo:[0,1] neg_hi:[0,1]
	;; [unrolled: 1-line block ×3, first 2 shown]
	v_pk_add_f32 v[44:45], v[42:43], v[62:63]
	v_pk_add_f32 v[54:55], v[24:25], v[56:57] neg_lo:[0,1] neg_hi:[0,1]
	v_mov_b32_e32 v57, v25
	v_mov_b32_e32 v88, v40
	;; [unrolled: 1-line block ×5, first 2 shown]
	v_pk_add_f32 v[44:45], v[56:57], v[44:45]
	v_pk_add_f32 v[64:65], v[40:41], v[10:11]
	v_pk_add_f32 v[88:89], v[88:89], v[90:91] neg_lo:[0,1] neg_hi:[0,1]
	v_mov_b32_e32 v90, v52
	v_mov_b32_e32 v41, v11
	v_pk_add_f32 v[24:25], v[38:39], v[44:45]
	v_pk_mul_f32 v[54:55], v[54:55], s[24:25]
	v_pk_add_f32 v[40:41], v[90:91], v[40:41] neg_lo:[0,1] neg_hi:[0,1]
	v_pk_mul_f32 v[38:39], v[46:47], s[22:23]
	v_pk_fma_f32 v[44:45], v[44:45], s[20:21], v[24:25] op_sel_hi:[1,0,1] neg_lo:[1,0,0] neg_hi:[1,0,0]
	v_pk_fma_f32 v[46:47], v[46:47], s[22:23], v[54:55]
	v_pk_add_f32 v[56:57], v[64:65], v[52:53]
	v_pk_mul_f32 v[40:41], v[40:41], s[26:27]
	v_pk_mul_f32 v[64:65], v[88:89], s[28:29]
	v_pk_add_f32 v[90:91], v[46:47], v[44:45]
	v_pk_add_f32 v[42:43], v[42:43], v[62:63] neg_lo:[0,1] neg_hi:[0,1]
	v_mov_b32_e32 v46, v38
	v_mov_b32_e32 v47, v55
	;; [unrolled: 1-line block ×3, first 2 shown]
	v_pk_add_f32 v[10:11], v[10:11], v[52:53] neg_lo:[0,1] neg_hi:[0,1]
	v_pk_fma_f32 v[46:47], v[42:43], s[18:19], v[46:47] op_sel_hi:[1,0,1] neg_lo:[0,0,1] neg_hi:[0,0,1]
	v_pk_fma_f32 v[38:39], v[42:43], s[18:19], v[54:55] op_sel_hi:[1,0,1] neg_lo:[1,0,1] neg_hi:[1,0,1]
	v_mov_b32_e32 v42, v64
	v_mov_b32_e32 v43, v41
	v_pk_fma_f32 v[88:89], v[88:89], s[28:29], v[40:41]
	v_pk_fma_f32 v[42:43], v[10:11], s[16:17], v[42:43] op_sel_hi:[1,0,1] neg_lo:[0,0,1] neg_hi:[0,0,1]
	v_mov_b32_e32 v41, v65
	v_pk_fma_f32 v[10:11], v[10:11], s[16:17], v[40:41] op_sel_hi:[1,0,1] neg_lo:[1,0,1] neg_hi:[1,0,1]
	v_pk_add_f32 v[40:41], v[46:47], v[44:45]
	v_pk_add_f32 v[46:47], v[38:39], v[44:45]
	v_pk_fma_f32 v[38:39], v[56:57], s[0:1], v[42:43] op_sel_hi:[1,0,1]
	v_pk_mul_f32 v[62:63], v[28:29], v[16:17] op_sel_hi:[1,0]
	v_pk_fma_f32 v[88:89], v[56:57], s[0:1], v[88:89] op_sel_hi:[1,0,1]
	v_pk_add_f32 v[52:53], v[40:41], v[38:39] neg_lo:[0,1] neg_hi:[0,1]
	v_pk_add_f32 v[44:45], v[40:41], v[38:39]
	v_pk_fma_f32 v[64:65], v[28:29], v[16:17], v[62:63] op_sel:[0,1,1] op_sel_hi:[1,1,0]
	v_pk_fma_f32 v[28:29], v[28:29], v[16:17], v[62:63] op_sel:[0,1,1] op_sel_hi:[1,1,0] neg_lo:[1,0,0] neg_hi:[1,0,0]
	v_mov_b32_e32 v62, v31
	v_mov_b32_e32 v63, v34
	;; [unrolled: 1-line block ×8, first 2 shown]
	v_pk_add_f32 v[52:53], v[90:91], v[88:89]
	v_pk_add_f32 v[54:55], v[90:91], v[88:89] neg_lo:[0,1] neg_hi:[0,1]
	v_mov_b32_e32 v88, v18
	v_mov_b32_e32 v89, v22
	v_pk_mul_f32 v[30:31], v[30:31], v[34:35]
	v_mov_b32_e32 v28, v15
	v_pk_fma_f32 v[34:35], v[62:63], v[18:19], v[30:31]
	v_pk_fma_f32 v[30:31], v[62:63], v[88:89], v[30:31] neg_lo:[0,0,1] neg_hi:[0,0,1]
	v_mov_b32_e32 v62, v37
	v_mov_b32_e32 v63, v32
	;; [unrolled: 1-line block ×7, first 2 shown]
	v_pk_mul_f32 v[32:33], v[36:37], v[32:33]
	v_mov_b32_e32 v65, v29
	v_pk_fma_f32 v[36:37], v[62:63], v[12:13], v[32:33]
	v_pk_fma_f32 v[32:33], v[62:63], v[88:89], v[32:33] neg_lo:[0,0,1] neg_hi:[0,0,1]
	v_pk_mul_f32 v[62:63], v[50:51], v[14:15] op_sel_hi:[1,0]
	v_mov_b32_e32 v35, v31
	v_pk_fma_f32 v[88:89], v[50:51], v[28:29], v[62:63] op_sel:[0,0,1] op_sel_hi:[1,0,0]
	v_pk_fma_f32 v[50:51], v[50:51], v[28:29], v[62:63] op_sel:[0,0,1] op_sel_hi:[1,0,0] neg_lo:[1,0,0] neg_hi:[1,0,0]
	v_mov_b32_e32 v37, v33
	v_mov_b32_e32 v89, v51
	;; [unrolled: 1-line block ×4, first 2 shown]
	v_pk_fma_f32 v[10:11], v[56:57], s[0:1], v[10:11] op_sel_hi:[1,0,1]
	v_pk_add_f32 v[56:57], v[84:85], v[86:87]
	v_pk_add_f32 v[62:63], v[64:65], v[88:89]
	v_pk_add_f32 v[64:65], v[64:65], v[88:89] neg_lo:[0,1] neg_hi:[0,1]
	v_pk_add_f32 v[88:89], v[34:35], v[36:37]
	v_pk_add_f32 v[28:29], v[58:59], v[60:61]
	v_pk_add_f32 v[34:35], v[34:35], v[36:37] neg_lo:[0,1] neg_hi:[0,1]
	v_mov_b32_e32 v36, v29
	v_mov_b32_e32 v37, v84
	;; [unrolled: 1-line block ×8, first 2 shown]
	v_pk_add_f32 v[36:37], v[36:37], v[50:51] neg_lo:[0,1] neg_hi:[0,1]
	v_pk_add_f32 v[86:87], v[56:57], v[28:29]
	v_pk_add_f32 v[30:31], v[32:33], v[30:31]
	v_mov_b32_e32 v60, v36
	v_mov_b32_e32 v61, v65
	;; [unrolled: 1-line block ×7, first 2 shown]
	v_pk_add_f32 v[60:61], v[60:61], v[34:35] neg_lo:[0,1] neg_hi:[0,1]
	v_pk_add_f32 v[32:33], v[32:33], v[56:57] neg_lo:[0,1] neg_hi:[0,1]
	v_mov_b32_e32 v29, v87
	v_mov_b32_e32 v90, v30
	;; [unrolled: 1-line block ×3, first 2 shown]
	v_pk_add_f32 v[30:31], v[86:87], v[30:31]
	v_pk_add_f32 v[50:51], v[50:51], v[36:37] neg_lo:[0,1] neg_hi:[0,1]
	v_pk_mul_f32 v[60:61], v[60:61], s[28:29]
	v_pk_add_f32 v[84:85], v[34:35], v[36:37]
	v_pk_add_f32 v[90:91], v[28:29], v[90:91] neg_lo:[0,1] neg_hi:[0,1]
	v_pk_add_f32 v[26:27], v[26:27], v[30:31]
	v_pk_mul_f32 v[32:33], v[32:33], s[22:23]
	v_pk_add_f32 v[38:39], v[46:47], v[10:11] neg_lo:[0,1] neg_hi:[0,1]
	v_pk_mul_f32 v[58:59], v[50:51], s[26:27]
	v_pk_add_f32 v[84:85], v[84:85], v[64:65]
	v_pk_mul_f32 v[86:87], v[90:91], s[24:25]
	v_pk_fma_f32 v[30:31], v[30:31], s[20:21], v[26:27] op_sel_hi:[1,0,1] neg_lo:[1,0,0] neg_hi:[1,0,0]
	v_pk_fma_f32 v[90:91], v[90:91], s[24:25], v[32:33]
	v_pk_fma_f32 v[50:51], v[50:51], s[26:27], v[60:61]
	v_pk_add_f32 v[40:41], v[46:47], v[10:11]
	v_mov_b32_e32 v46, v38
	v_mul_u32_u24_e32 v38, 0xb6, v71
	v_pk_add_f32 v[90:91], v[90:91], v[30:31]
	v_pk_fma_f32 v[50:51], v[84:85], s[0:1], v[50:51] op_sel_hi:[1,0,1]
	v_add_u32_e32 v38, v38, v107
	v_pk_add_f32 v[92:93], v[90:91], v[50:51]
	v_pk_add_f32 v[50:51], v[90:91], v[50:51] neg_lo:[0,1] neg_hi:[0,1]
	v_add_lshl_u32 v205, v134, v38, 3
	v_mov_b32_e32 v90, v92
	v_mov_b32_e32 v91, v51
	;; [unrolled: 1-line block ×5, first 2 shown]
	ds_write2_b64 v205, v[26:27], v[90:91] offset1:26
	v_pk_add_f32 v[26:27], v[34:35], v[64:65] neg_lo:[0,1] neg_hi:[0,1]
	v_pk_add_f32 v[28:29], v[56:57], v[28:29] neg_lo:[0,1] neg_hi:[0,1]
	v_mov_b32_e32 v34, v86
	v_mov_b32_e32 v35, v33
	;; [unrolled: 1-line block ×6, first 2 shown]
	v_pk_fma_f32 v[34:35], v[28:29], s[18:19], v[34:35] op_sel_hi:[1,0,1] neg_lo:[1,0,1] neg_hi:[1,0,1]
	v_pk_fma_f32 v[36:37], v[26:27], s[16:17], v[36:37] op_sel_hi:[1,0,1] neg_lo:[1,0,1] neg_hi:[1,0,1]
	;; [unrolled: 1-line block ×4, first 2 shown]
	v_pk_add_f32 v[34:35], v[34:35], v[30:31]
	v_pk_fma_f32 v[36:37], v[84:85], s[0:1], v[36:37] op_sel_hi:[1,0,1]
	v_pk_add_f32 v[28:29], v[28:29], v[30:31]
	v_pk_fma_f32 v[26:27], v[84:85], s[0:1], v[26:27] op_sel_hi:[1,0,1]
	v_pk_add_f32 v[56:57], v[34:35], v[36:37]
	v_pk_add_f32 v[34:35], v[34:35], v[36:37] neg_lo:[0,1] neg_hi:[0,1]
	v_pk_add_f32 v[30:31], v[28:29], v[26:27] neg_lo:[0,1] neg_hi:[0,1]
	v_pk_add_f32 v[26:27], v[28:29], v[26:27]
	v_mov_b32_e32 v47, v41
	v_mov_b32_e32 v10, v54
	;; [unrolled: 1-line block ×10, first 2 shown]
	ds_write2_b64 v205, v[36:37], v[28:29] offset0:52 offset1:78
	ds_write2_b64 v205, v[26:27], v[34:35] offset0:104 offset1:130
	ds_write_b64 v205, v[50:51] offset:1248
	s_and_saveexec_b64 s[0:1], s[2:3]
	s_cbranch_execz .LBB0_13
; %bb.12:
	v_mul_u32_u24_e32 v26, 0xb6, v197
	v_add_u32_e32 v26, v26, v198
	v_add_lshl_u32 v26, v134, v26, 3
	v_mov_b32_e32 v53, v55
	v_mov_b32_e32 v41, v39
	ds_write2_b64 v26, v[24:25], v[52:53] offset1:26
	ds_write2_b64 v26, v[40:41], v[42:43] offset0:52 offset1:78
	ds_write2_b64 v26, v[44:45], v[46:47] offset0:104 offset1:130
	ds_write_b64 v26, v[10:11] offset:1248
.LBB0_13:
	s_or_b64 exec, exec, s[0:1]
	v_lshlrev_b32_e32 v24, 5, v66
	s_waitcnt lgkmcnt(0)
	s_barrier
	global_load_dwordx4 v[28:31], v24, s[6:7] offset:1368
	global_load_dwordx4 v[36:39], v24, s[6:7] offset:1352
	v_lshlrev_b64 v[24:25], 5, v[48:49]
	v_lshl_add_u64 v[40:41], s[6:7], 0, v[24:25]
	global_load_dwordx4 v[32:35], v[40:41], off offset:1352
	global_load_dwordx4 v[24:27], v[40:41], off offset:1368
	v_add_u32_e32 v41, 0x400, v67
	v_add_u32_e32 v40, 0x1400, v67
	;; [unrolled: 1-line block ×4, first 2 shown]
	ds_read2_b64 v[58:61], v67 offset1:91
	ds_read2_b64 v[48:51], v41 offset0:54 offset1:145
	ds_read2_b64 v[52:55], v40 offset0:88 offset1:179
	ds_read2_b64 v[62:65], v57 offset0:34 offset1:125
	ds_read2_b64 v[84:87], v56 offset0:108 offset1:199
	s_mov_b32 s0, 0x3f737871
	s_mov_b32 s6, 0x3f167918
	;; [unrolled: 1-line block ×3, first 2 shown]
	v_lshl_add_u32 v196, v66, 3, v69
	s_waitcnt vmcnt(3)
	v_mov_b32_e32 v40, v31
	s_waitcnt vmcnt(2) lgkmcnt(3)
	v_pk_mul_f32 v[56:57], v[48:49], v[36:37] op_sel:[0,1]
	v_mov_b32_e32 v88, v39
	s_waitcnt lgkmcnt(1)
	v_pk_mul_f32 v[90:91], v[62:63], v[28:29] op_sel:[0,1]
	v_pk_mul_f32 v[40:41], v[52:53], v[40:41] op_sel_hi:[1,0]
	v_pk_fma_f32 v[92:93], v[48:49], v[36:37], v[56:57] op_sel:[0,0,1] op_sel_hi:[1,1,0] neg_lo:[0,0,1] neg_hi:[0,0,1]
	v_pk_fma_f32 v[48:49], v[48:49], v[36:37], v[56:57] op_sel:[0,0,1] op_sel_hi:[1,0,0]
	s_waitcnt lgkmcnt(0)
	v_pk_mul_f32 v[56:57], v[84:85], v[88:89] op_sel_hi:[1,0]
	v_pk_fma_f32 v[88:89], v[62:63], v[28:29], v[90:91] op_sel:[0,0,1] op_sel_hi:[1,1,0] neg_lo:[0,0,1] neg_hi:[0,0,1]
	v_pk_fma_f32 v[62:63], v[62:63], v[28:29], v[90:91] op_sel:[0,0,1] op_sel_hi:[1,0,0]
	s_waitcnt vmcnt(1)
	v_pk_mul_f32 v[90:91], v[50:51], v[32:33] op_sel:[0,1]
	v_mov_b32_e32 v48, v35
	s_waitcnt vmcnt(0)
	v_pk_mul_f32 v[94:95], v[64:65], v[24:25] op_sel:[0,1]
	v_mov_b32_e32 v62, v27
	v_pk_fma_f32 v[96:97], v[52:53], v[30:31], v[40:41] op_sel:[0,0,1] op_sel_hi:[1,0,0]
	v_pk_fma_f32 v[40:41], v[52:53], v[30:31], v[40:41] op_sel:[0,0,1] op_sel_hi:[1,0,0] neg_lo:[0,0,1] neg_hi:[0,0,1]
	v_mov_b32_e32 v93, v49
	v_pk_fma_f32 v[52:53], v[84:85], v[38:39], v[56:57] op_sel:[0,0,1] op_sel_hi:[1,1,0] neg_lo:[0,0,1] neg_hi:[0,0,1]
	v_pk_fma_f32 v[56:57], v[84:85], v[38:39], v[56:57] op_sel:[0,0,1] op_sel_hi:[1,0,0]
	v_mov_b32_e32 v89, v63
	v_pk_fma_f32 v[98:99], v[50:51], v[32:33], v[90:91] op_sel:[0,0,1] op_sel_hi:[1,1,0] neg_lo:[0,0,1] neg_hi:[0,0,1]
	v_pk_fma_f32 v[50:51], v[50:51], v[32:33], v[90:91] op_sel:[0,0,1] op_sel_hi:[1,0,0]
	v_pk_mul_f32 v[48:49], v[86:87], v[48:49] op_sel_hi:[1,0]
	v_pk_fma_f32 v[90:91], v[64:65], v[24:25], v[94:95] op_sel:[0,0,1] op_sel_hi:[1,1,0] neg_lo:[0,0,1] neg_hi:[0,0,1]
	v_pk_fma_f32 v[64:65], v[64:65], v[24:25], v[94:95] op_sel:[0,0,1] op_sel_hi:[1,0,0]
	v_pk_mul_f32 v[62:63], v[54:55], v[62:63] op_sel_hi:[1,0]
	v_mov_b32_e32 v41, v97
	v_mov_b32_e32 v53, v57
	v_pk_add_f32 v[56:57], v[58:59], v[92:93]
	v_pk_fma_f32 v[94:95], v[86:87], v[34:35], v[48:49] op_sel:[0,0,1] op_sel_hi:[1,1,0] neg_lo:[0,0,1] neg_hi:[0,0,1]
	v_pk_fma_f32 v[48:49], v[86:87], v[34:35], v[48:49] op_sel:[0,0,1] op_sel_hi:[1,0,0]
	v_mov_b32_e32 v91, v65
	v_pk_fma_f32 v[64:65], v[54:55], v[26:27], v[62:63] op_sel:[0,0,1] op_sel_hi:[1,1,0] neg_lo:[0,0,1] neg_hi:[0,0,1]
	v_pk_fma_f32 v[54:55], v[54:55], v[26:27], v[62:63] op_sel:[0,0,1] op_sel_hi:[1,0,0]
	v_pk_add_f32 v[62:63], v[52:53], v[88:89]
	v_pk_add_f32 v[84:85], v[92:93], v[40:41] neg_lo:[0,1] neg_hi:[0,1]
	v_pk_add_f32 v[56:57], v[56:57], v[52:53]
	v_pk_add_f32 v[100:101], v[92:93], v[40:41]
	v_mov_b32_e32 v99, v51
	v_pk_add_f32 v[50:51], v[52:53], v[88:89] neg_lo:[0,1] neg_hi:[0,1]
	v_pk_add_f32 v[86:87], v[92:93], v[52:53] neg_lo:[0,1] neg_hi:[0,1]
	;; [unrolled: 1-line block ×4, first 2 shown]
	v_mov_b32_e32 v95, v49
	v_pk_fma_f32 v[48:49], v[62:63], 0.5, v[58:59] op_sel_hi:[1,0,1] neg_lo:[1,0,0] neg_hi:[1,0,0]
	v_pk_mul_f32 v[62:63], v[84:85], s[0:1] op_sel_hi:[1,0]
	v_pk_add_f32 v[56:57], v[56:57], v[88:89]
	v_pk_fma_f32 v[58:59], v[100:101], 0.5, v[58:59] op_sel_hi:[1,0,1] neg_lo:[1,0,0] neg_hi:[1,0,0]
	v_pk_add_f32 v[96:97], v[40:41], v[88:89] neg_lo:[0,1] neg_hi:[0,1]
	v_pk_mul_f32 v[88:89], v[84:85], s[6:7] op_sel_hi:[1,0]
	v_pk_add_f32 v[52:53], v[52:53], v[92:93]
	v_pk_add_f32 v[92:93], v[48:49], v[62:63] op_sel:[0,1] op_sel_hi:[1,0] neg_lo:[0,1] neg_hi:[0,1]
	v_pk_add_f32 v[84:85], v[56:57], v[40:41]
	v_pk_add_f32 v[40:41], v[48:49], v[62:63] op_sel:[0,1] op_sel_hi:[1,0]
	v_pk_fma_f32 v[48:49], v[50:51], s[0:1], v[58:59] op_sel:[1,0,0] op_sel_hi:[0,0,1] neg_lo:[1,0,0] neg_hi:[1,0,0]
	v_pk_fma_f32 v[56:57], v[50:51], s[0:1], v[58:59] op_sel:[1,0,0] op_sel_hi:[0,0,1]
	v_pk_fma_f32 v[58:59], v[50:51], s[6:7], v[92:93] op_sel:[1,0,0] op_sel_hi:[0,0,1] neg_lo:[1,0,0] neg_hi:[1,0,0]
	v_pk_fma_f32 v[40:41], v[50:51], s[6:7], v[40:41] op_sel:[1,0,0] op_sel_hi:[0,0,1]
	v_pk_add_f32 v[56:57], v[56:57], v[88:89] op_sel:[0,1] op_sel_hi:[1,0] neg_lo:[0,1] neg_hi:[0,1]
	v_pk_add_f32 v[48:49], v[48:49], v[88:89] op_sel:[0,1] op_sel_hi:[1,0]
	v_pk_add_f32 v[86:87], v[86:87], v[96:97]
	v_mov_b32_e32 v50, v40
	v_mov_b32_e32 v51, v59
	;; [unrolled: 1-line block ×6, first 2 shown]
	v_pk_add_f32 v[40:41], v[94:95], v[90:91]
	v_mov_b32_e32 v57, v49
	v_pk_fma_f32 v[48:49], v[86:87], s[16:17], v[50:51] op_sel_hi:[1,0,1]
	v_pk_fma_f32 v[50:51], v[52:53], s[16:17], v[62:63] op_sel_hi:[1,0,1]
	v_pk_fma_f32 v[40:41], v[40:41], 0.5, v[60:61] op_sel_hi:[1,0,1] neg_lo:[1,0,0] neg_hi:[1,0,0]
	v_pk_add_f32 v[62:63], v[98:99], v[64:65] neg_lo:[0,1] neg_hi:[0,1]
	v_pk_fma_f32 v[54:55], v[86:87], s[16:17], v[58:59] op_sel_hi:[1,0,1]
	v_pk_fma_f32 v[58:59], v[62:63], s[0:1], v[40:41] op_sel:[1,0,0] op_sel_hi:[0,0,1]
	v_pk_fma_f32 v[40:41], v[62:63], s[0:1], v[40:41] op_sel:[1,0,0] op_sel_hi:[0,0,1] neg_lo:[1,0,0] neg_hi:[1,0,0]
	v_pk_add_f32 v[86:87], v[94:95], v[90:91] neg_lo:[0,1] neg_hi:[0,1]
	v_pk_fma_f32 v[52:53], v[52:53], s[16:17], v[56:57] op_sel_hi:[1,0,1]
	v_pk_fma_f32 v[40:41], v[86:87], s[6:7], v[40:41] op_sel:[1,0,0] op_sel_hi:[0,0,1] neg_lo:[1,0,0] neg_hi:[1,0,0]
	v_pk_fma_f32 v[88:89], v[86:87], s[6:7], v[58:59] op_sel:[1,0,0] op_sel_hi:[0,0,1]
	v_pk_add_f32 v[56:57], v[60:61], v[98:99]
	v_mov_b32_e32 v58, v88
	v_mov_b32_e32 v59, v41
	;; [unrolled: 1-line block ×3, first 2 shown]
	v_pk_add_f32 v[88:89], v[98:99], v[64:65]
	v_pk_add_f32 v[56:57], v[56:57], v[94:95]
	v_pk_fma_f32 v[60:61], v[88:89], 0.5, v[60:61] op_sel_hi:[1,0,1] neg_lo:[1,0,0] neg_hi:[1,0,0]
	v_pk_add_f32 v[56:57], v[56:57], v[90:91]
	v_pk_fma_f32 v[88:89], v[86:87], s[0:1], v[60:61] op_sel:[1,0,0] op_sel_hi:[0,0,1] neg_lo:[1,0,0] neg_hi:[1,0,0]
	v_pk_fma_f32 v[60:61], v[86:87], s[0:1], v[60:61] op_sel:[1,0,0] op_sel_hi:[0,0,1]
	v_pk_add_f32 v[56:57], v[56:57], v[64:65]
	v_pk_add_f32 v[92:93], v[98:99], v[94:95] neg_lo:[0,1] neg_hi:[0,1]
	v_pk_add_f32 v[96:97], v[64:65], v[90:91] neg_lo:[0,1] neg_hi:[0,1]
	v_pk_fma_f32 v[60:61], v[62:63], s[6:7], v[60:61] op_sel:[1,0,0] op_sel_hi:[0,0,1] neg_lo:[1,0,0] neg_hi:[1,0,0]
	v_pk_fma_f32 v[86:87], v[62:63], s[6:7], v[88:89] op_sel:[1,0,0] op_sel_hi:[0,0,1]
	v_pk_add_f32 v[88:89], v[94:95], v[98:99] neg_lo:[0,1] neg_hi:[0,1]
	v_pk_add_f32 v[64:65], v[90:91], v[64:65] neg_lo:[0,1] neg_hi:[0,1]
	v_pk_add_f32 v[92:93], v[92:93], v[96:97]
	v_mov_b32_e32 v62, v86
	v_mov_b32_e32 v63, v61
	v_pk_add_f32 v[64:65], v[88:89], v[64:65]
	v_mov_b32_e32 v61, v87
	v_pk_fma_f32 v[58:59], v[92:93], s[16:17], v[58:59] op_sel_hi:[1,0,1]
	v_pk_fma_f32 v[40:41], v[92:93], s[16:17], v[40:41] op_sel_hi:[1,0,1]
	;; [unrolled: 1-line block ×4, first 2 shown]
	v_add_u32_e32 v86, 0x800, v196
	v_add_u32_e32 v61, 0xc00, v196
	;; [unrolled: 1-line block ×3, first 2 shown]
	ds_write_b64 v196, v[84:85]
	ds_write2_b64 v196, v[56:57], v[48:49] offset0:91 offset1:182
	ds_write2_b64 v86, v[58:59], v[50:51] offset0:17 offset1:108
	;; [unrolled: 1-line block ×4, first 2 shown]
	ds_write_b64 v196, v[40:41] offset:6552
	s_waitcnt lgkmcnt(0)
	s_barrier
	s_and_saveexec_b64 s[0:1], s[4:5]
	s_cbranch_execz .LBB0_15
; %bb.14:
	v_mov_b32_e32 v71, 0
	v_lshl_add_u64 v[92:93], s[12:13], 0, v[70:71]
	v_add_co_u32_e32 v90, vcc, 0x1000, v92
	ds_read_b64 v[88:89], v196
	s_nop 0
	v_addc_co_u32_e32 v91, vcc, 0, v93, vcc
	global_load_dwordx2 v[90:91], v[90:91], off offset:3184
	s_mov_b64 s[6:7], 0x1c70
	v_lshl_add_u64 v[94:95], v[92:93], 0, s[6:7]
	s_movk_i32 s6, 0x2000
	s_waitcnt vmcnt(0) lgkmcnt(0)
	v_mul_f32_e32 v71, v89, v91
	v_mul_f32_e32 v97, v88, v91
	v_fma_f32 v96, v88, v90, -v71
	v_fmac_f32_e32 v97, v89, v90
	ds_write_b64 v196, v[96:97]
	global_load_dwordx2 v[96:97], v[94:95], off offset:560
	ds_read2_b64 v[88:91], v196 offset0:70 offset1:140
	s_waitcnt vmcnt(0) lgkmcnt(0)
	v_mul_f32_e32 v71, v89, v97
	v_mul_f32_e32 v99, v88, v97
	v_fma_f32 v98, v88, v96, -v71
	v_fmac_f32_e32 v99, v89, v96
	global_load_dwordx2 v[88:89], v[94:95], off offset:1120
	s_waitcnt vmcnt(0)
	v_mul_f32_e32 v71, v91, v89
	v_mul_f32_e32 v97, v90, v89
	v_fma_f32 v96, v90, v88, -v71
	v_fmac_f32_e32 v97, v91, v88
	ds_write2_b64 v196, v[98:99], v[96:97] offset0:70 offset1:140
	global_load_dwordx2 v[96:97], v[94:95], off offset:1680
	v_add_u32_e32 v71, 0x400, v196
	ds_read2_b64 v[88:91], v71 offset0:82 offset1:152
	s_waitcnt vmcnt(0) lgkmcnt(0)
	v_mul_f32_e32 v87, v89, v97
	v_mul_f32_e32 v99, v88, v97
	v_fma_f32 v98, v88, v96, -v87
	v_fmac_f32_e32 v99, v89, v96
	global_load_dwordx2 v[88:89], v[94:95], off offset:2240
	s_waitcnt vmcnt(0)
	v_mul_f32_e32 v87, v91, v89
	v_mul_f32_e32 v97, v90, v89
	v_fma_f32 v96, v90, v88, -v87
	v_fmac_f32_e32 v97, v91, v88
	ds_write2_b64 v71, v[98:99], v[96:97] offset0:82 offset1:152
	global_load_dwordx2 v[96:97], v[94:95], off offset:2800
	ds_read2_b64 v[88:91], v86 offset0:94 offset1:164
	s_waitcnt vmcnt(0) lgkmcnt(0)
	v_mul_f32_e32 v71, v89, v97
	v_mul_f32_e32 v99, v88, v97
	v_fma_f32 v98, v88, v96, -v71
	v_fmac_f32_e32 v99, v89, v96
	global_load_dwordx2 v[88:89], v[94:95], off offset:3360
	s_waitcnt vmcnt(0)
	v_mul_f32_e32 v71, v91, v89
	v_mul_f32_e32 v97, v90, v89
	v_fma_f32 v96, v90, v88, -v71
	v_fmac_f32_e32 v97, v91, v88
	global_load_dwordx2 v[90:91], v[94:95], off offset:3920
	ds_write2_b64 v86, v[98:99], v[96:97] offset0:94 offset1:164
	ds_read2_b64 v[86:89], v61 offset0:106 offset1:176
	s_waitcnt vmcnt(0) lgkmcnt(0)
	v_mul_f32_e32 v71, v87, v91
	v_fma_f32 v94, v86, v90, -v71
	v_mul_f32_e32 v95, v86, v91
	v_add_co_u32_e32 v86, vcc, s6, v92
	v_fmac_f32_e32 v95, v87, v90
	s_nop 0
	v_addc_co_u32_e32 v87, vcc, 0, v93, vcc
	global_load_dwordx2 v[86:87], v[86:87], off offset:3568
	s_movk_i32 s6, 0x3000
	s_waitcnt vmcnt(0)
	v_mul_f32_e32 v71, v89, v87
	v_mul_f32_e32 v91, v88, v87
	v_fma_f32 v90, v88, v86, -v71
	v_fmac_f32_e32 v91, v89, v86
	ds_write2_b64 v61, v[94:95], v[90:91] offset0:106 offset1:176
	v_add_co_u32_e32 v90, vcc, s6, v92
	ds_read2_b64 v[86:89], v60 offset0:118 offset1:188
	s_nop 0
	v_addc_co_u32_e32 v91, vcc, 0, v93, vcc
	global_load_dwordx2 v[92:93], v[90:91], off offset:32
	v_add_u32_e32 v71, 0x1800, v196
	s_waitcnt vmcnt(0) lgkmcnt(0)
	v_mul_f32_e32 v61, v87, v93
	v_mul_f32_e32 v95, v86, v93
	v_fma_f32 v94, v86, v92, -v61
	v_fmac_f32_e32 v95, v87, v92
	global_load_dwordx2 v[86:87], v[90:91], off offset:592
	s_waitcnt vmcnt(0)
	v_mul_f32_e32 v61, v89, v87
	v_mul_f32_e32 v93, v88, v87
	v_fma_f32 v92, v88, v86, -v61
	v_fmac_f32_e32 v93, v89, v86
	ds_write2_b64 v60, v[94:95], v[92:93] offset0:118 offset1:188
	global_load_dwordx2 v[60:61], v[90:91], off offset:1152
	ds_read2_b64 v[86:89], v71 offset0:2 offset1:72
	s_waitcnt vmcnt(0) lgkmcnt(0)
	v_mul_f32_e32 v92, v87, v61
	v_mul_f32_e32 v93, v86, v61
	v_fma_f32 v92, v86, v60, -v92
	v_fmac_f32_e32 v93, v87, v60
	global_load_dwordx2 v[60:61], v[90:91], off offset:1712
	s_waitcnt vmcnt(0)
	v_mul_f32_e32 v86, v89, v61
	v_mul_f32_e32 v87, v88, v61
	v_fma_f32 v86, v88, v60, -v86
	v_fmac_f32_e32 v87, v89, v60
	ds_write2_b64 v71, v[92:93], v[86:87] offset0:2 offset1:72
.LBB0_15:
	s_or_b64 exec, exec, s[0:1]
	s_waitcnt lgkmcnt(0)
	s_barrier
	s_and_saveexec_b64 s[0:1], s[4:5]
	s_cbranch_execz .LBB0_17
; %bb.16:
	v_add_u32_e32 v40, 0x400, v196
	ds_read_b64 v[84:85], v196
	ds_read2_b64 v[48:51], v196 offset0:70 offset1:140
	ds_read2_b64 v[52:55], v40 offset0:82 offset1:152
	v_add_u32_e32 v40, 0x800, v196
	ds_read2_b64 v[56:59], v40 offset0:94 offset1:164
	v_add_u32_e32 v40, 0xc00, v196
	;; [unrolled: 2-line block ×3, first 2 shown]
	v_add_u32_e32 v44, 0x1800, v196
	ds_read2_b64 v[40:43], v40 offset0:118 offset1:188
	ds_read2_b64 v[44:47], v44 offset0:2 offset1:72
.LBB0_17:
	s_or_b64 exec, exec, s[0:1]
	s_waitcnt lgkmcnt(0)
	v_pk_add_f32 v[60:61], v[48:49], v[46:47] neg_lo:[0,1] neg_hi:[0,1]
	v_pk_add_f32 v[102:103], v[48:49], v[46:47]
	v_mov_b32_e32 v91, v60
	v_mov_b32_e32 v90, v102
	v_mov_b32_e32 v102, v61
	v_pk_add_f32 v[60:61], v[50:51], v[44:45] neg_lo:[0,1] neg_hi:[0,1]
	v_pk_add_f32 v[104:105], v[50:51], v[44:45]
	v_mov_b32_e32 v93, v60
	v_mov_b32_e32 v92, v104
	v_mov_b32_e32 v104, v61
	;; [unrolled: 5-line block ×4, first 2 shown]
	v_pk_add_f32 v[60:61], v[56:57], v[64:65] neg_lo:[0,1] neg_hi:[0,1]
	v_pk_add_f32 v[110:111], v[56:57], v[64:65]
	s_mov_b32 s21, 0x3f62ad3f
	s_mov_b32 s20, 0xbeedf032
	;; [unrolled: 1-line block ×3, first 2 shown]
	v_mov_b32_e32 v98, v110
	v_mov_b32_e32 v99, v60
	;; [unrolled: 1-line block ×3, first 2 shown]
	v_pk_add_f32 v[60:61], v[58:59], v[62:63] neg_lo:[0,1] neg_hi:[0,1]
	v_pk_add_f32 v[114:115], v[58:59], v[62:63]
	v_pk_mul_f32 v[124:125], v[102:103], s[20:21]
	s_mov_b32 s48, s21
	s_mov_b32 s49, s20
	;; [unrolled: 1-line block ×3, first 2 shown]
	v_mov_b32_e32 v100, v114
	v_mov_b32_e32 v101, v60
	;; [unrolled: 1-line block ×3, first 2 shown]
	v_pk_fma_f32 v[60:61], v[90:91], s[48:49], v[124:125] neg_lo:[0,0,1] neg_hi:[0,0,1]
	v_pk_fma_f32 v[126:127], v[90:91], s[48:49], v[124:125]
	v_pk_mul_f32 v[128:129], v[104:105], s[36:37]
	s_mov_b32 s6, s37
	s_mov_b32 s7, s36
	;; [unrolled: 1-line block ×3, first 2 shown]
	v_mov_b32_e32 v61, v127
	v_pk_fma_f32 v[86:87], v[92:93], s[6:7], v[128:129] neg_lo:[0,0,1] neg_hi:[0,0,1]
	v_pk_fma_f32 v[130:131], v[92:93], s[6:7], v[128:129]
	s_mov_b32 s45, 0x3df6dbef
	v_pk_add_f32 v[60:61], v[84:85], v[60:61]
	v_mov_b32_e32 v87, v131
	v_pk_mul_f32 v[132:133], v[106:107], s[44:45]
	s_mov_b32 s0, s45
	s_mov_b32 s1, s44
	;; [unrolled: 1-line block ×3, first 2 shown]
	v_pk_add_f32 v[60:61], v[86:87], v[60:61]
	v_pk_fma_f32 v[86:87], v[94:95], s[0:1], v[132:133] neg_lo:[0,0,1] neg_hi:[0,0,1]
	v_pk_fma_f32 v[134:135], v[94:95], s[0:1], v[132:133]
	s_mov_b32 s29, 0xbeb58ec6
	v_mov_b32_e32 v87, v135
	v_pk_mul_f32 v[136:137], v[108:109], s[28:29]
	s_mov_b32 s16, s29
	s_mov_b32 s17, s28
	;; [unrolled: 1-line block ×3, first 2 shown]
	v_pk_add_f32 v[60:61], v[86:87], v[60:61]
	v_pk_fma_f32 v[86:87], v[96:97], s[16:17], v[136:137] neg_lo:[0,0,1] neg_hi:[0,0,1]
	v_pk_fma_f32 v[138:139], v[96:97], s[16:17], v[136:137]
	s_mov_b32 s35, 0xbf3f9e67
	v_mov_b32_e32 v87, v139
	v_pk_mul_f32 v[140:141], v[110:111], s[34:35]
	s_mov_b32 s18, s35
	s_mov_b32 s19, s34
	v_pk_add_f32 v[60:61], v[86:87], v[60:61]
	v_pk_fma_f32 v[86:87], v[98:99], s[18:19], v[140:141] neg_lo:[0,0,1] neg_hi:[0,0,1]
	v_pk_fma_f32 v[142:143], v[98:99], s[18:19], v[140:141]
	v_pk_mul_f32 v[146:147], v[102:103], s[36:37]
	v_mov_b32_e32 v87, v143
	v_pk_add_f32 v[60:61], v[86:87], v[60:61]
	s_mov_b32 s40, 0xbe750f2a
	v_pk_fma_f32 v[144:145], v[90:91], s[6:7], v[146:147]
	v_pk_fma_f32 v[86:87], v[90:91], s[6:7], v[146:147] neg_lo:[0,0,1] neg_hi:[0,0,1]
	v_pk_mul_f32 v[150:151], v[104:105], s[28:29]
	s_mov_b32 s41, 0xbf788fa5
	v_mov_b32_e32 v87, v145
	v_pk_fma_f32 v[148:149], v[92:93], s[16:17], v[150:151]
	v_pk_fma_f32 v[88:89], v[92:93], s[16:17], v[150:151] neg_lo:[0,0,1] neg_hi:[0,0,1]
	s_mov_b32 s26, s41
	s_mov_b32 s27, s40
	v_pk_add_f32 v[86:87], v[84:85], v[86:87]
	v_mov_b32_e32 v89, v149
	v_pk_mul_f32 v[154:155], v[106:107], s[40:41]
	v_pk_add_f32 v[86:87], v[88:89], v[86:87]
	v_pk_fma_f32 v[152:153], v[94:95], s[26:27], v[154:155]
	v_pk_fma_f32 v[88:89], v[94:95], s[26:27], v[154:155] neg_lo:[0,0,1] neg_hi:[0,0,1]
	s_mov_b32 s46, 0x3f29c268
	s_mov_b32 s47, s35
	v_mov_b32_e32 v89, v153
	v_pk_mul_f32 v[156:157], v[108:109], s[46:47]
	s_mov_b32 s22, s35
	s_mov_b32 s23, s46
	v_pk_add_f32 v[86:87], v[88:89], v[86:87]
	v_pk_fma_f32 v[158:159], v[96:97], s[22:23], v[156:157]
	v_pk_fma_f32 v[88:89], v[96:97], s[22:23], v[156:157] neg_lo:[0,0,1] neg_hi:[0,0,1]
	s_mov_b32 s42, 0x3f7e222b
	s_mov_b32 s43, s45
	v_mov_b32_e32 v89, v159
	v_pk_mul_f32 v[160:161], v[110:111], s[42:43]
	s_mov_b32 s30, s45
	s_mov_b32 s31, s42
	v_pk_add_f32 v[86:87], v[88:89], v[86:87]
	v_pk_fma_f32 v[162:163], v[98:99], s[30:31], v[160:161]
	v_pk_fma_f32 v[88:89], v[98:99], s[30:31], v[160:161] neg_lo:[0,0,1] neg_hi:[0,0,1]
	s_mov_b32 s20, 0x3eedf032
	v_mov_b32_e32 v89, v163
	v_pk_mul_f32 v[164:165], v[114:115], s[20:21]
	s_mov_b32 s24, s21
	s_mov_b32 s25, s20
	v_pk_add_f32 v[86:87], v[88:89], v[86:87]
	v_pk_fma_f32 v[168:169], v[100:101], s[24:25], v[164:165]
	v_pk_fma_f32 v[88:89], v[100:101], s[24:25], v[164:165] neg_lo:[0,0,1] neg_hi:[0,0,1]
	v_pk_mul_f32 v[170:171], v[102:103], s[44:45]
	v_mov_b32_e32 v89, v169
	v_pk_add_f32 v[86:87], v[88:89], v[86:87]
	v_pk_fma_f32 v[166:167], v[90:91], s[0:1], v[170:171]
	v_pk_fma_f32 v[88:89], v[90:91], s[0:1], v[170:171] neg_lo:[0,0,1] neg_hi:[0,0,1]
	v_pk_mul_f32 v[174:175], v[104:105], s[40:41]
	v_mov_b32_e32 v89, v167
	v_pk_fma_f32 v[172:173], v[92:93], s[26:27], v[174:175]
	v_pk_fma_f32 v[112:113], v[92:93], s[26:27], v[174:175] neg_lo:[0,0,1] neg_hi:[0,0,1]
	s_mov_b32 s38, 0x3f6f5d39
	s_mov_b32 s39, s29
	v_pk_add_f32 v[88:89], v[84:85], v[88:89]
	v_mov_b32_e32 v113, v173
	v_pk_mul_f32 v[176:177], v[106:107], s[38:39]
	s_mov_b32 s50, s29
	s_mov_b32 s51, s38
	v_pk_add_f32 v[88:89], v[112:113], v[88:89]
	v_pk_fma_f32 v[178:179], v[94:95], s[50:51], v[176:177]
	v_pk_fma_f32 v[112:113], v[94:95], s[50:51], v[176:177] neg_lo:[0,0,1] neg_hi:[0,0,1]
	v_pk_mul_f32 v[182:183], v[108:109], s[20:21]
	v_mov_b32_e32 v113, v179
	v_pk_add_f32 v[88:89], v[112:113], v[88:89]
	v_pk_fma_f32 v[180:181], v[96:97], s[24:25], v[182:183]
	v_pk_fma_f32 v[112:113], v[96:97], s[24:25], v[182:183] neg_lo:[0,0,1] neg_hi:[0,0,1]
	v_pk_mul_f32 v[186:187], v[110:111], s[36:37]
	v_mov_b32_e32 v113, v181
	;; [unrolled: 5-line block ×3, first 2 shown]
	v_pk_mul_f32 v[194:195], v[114:115], s[40:41]
	v_pk_add_f32 v[88:89], v[112:113], v[88:89]
	v_pk_fma_f32 v[188:189], v[100:101], s[18:19], v[190:191]
	v_pk_fma_f32 v[112:113], v[100:101], s[18:19], v[190:191] neg_lo:[0,0,1] neg_hi:[0,0,1]
	v_pk_fma_f32 v[206:207], v[100:101], s[26:27], v[194:195] neg_lo:[0,0,1] neg_hi:[0,0,1]
	v_pk_fma_f32 v[192:193], v[100:101], s[26:27], v[194:195]
	v_mov_b32_e32 v113, v189
	v_mov_b32_e32 v207, v193
	v_pk_add_f32 v[88:89], v[112:113], v[88:89]
	v_mov_b32_e32 v122, v78
	v_mov_b32_e32 v123, v78
	;; [unrolled: 1-line block ×15, first 2 shown]
	v_pk_add_f32 v[60:61], v[206:207], v[60:61]
	s_barrier
	s_and_saveexec_b64 s[38:39], s[4:5]
	s_cbranch_execz .LBB0_19
; %bb.18:
	v_pk_add_f32 v[48:49], v[48:49], v[84:85]
	v_pk_mul_f32 v[206:207], v[90:91], s[48:49]
	v_pk_add_f32 v[48:49], v[50:51], v[48:49]
	v_pk_mul_f32 v[208:209], v[92:93], s[6:7]
	;; [unrolled: 2-line block ×7, first 2 shown]
	v_pk_add_f32 v[48:49], v[64:65], v[48:49]
	v_lshl_add_u32 v71, v199, 3, v69
	v_pk_add_f32 v[40:41], v[40:41], v[48:49]
	v_pk_mul_f32 v[222:223], v[94:95], s[26:27]
	v_pk_add_f32 v[40:41], v[42:43], v[40:41]
	v_pk_add_f32 v[42:43], v[124:125], v[206:207] neg_lo:[0,1] neg_hi:[0,1]
	v_pk_add_f32 v[40:41], v[44:45], v[40:41]
	v_mov_b32_e32 v127, v43
	v_pk_add_f32 v[44:45], v[128:129], v[208:209] neg_lo:[0,1] neg_hi:[0,1]
	v_pk_add_f32 v[42:43], v[84:85], v[126:127]
	v_mov_b32_e32 v131, v45
	;; [unrolled: 3-line block ×6, first 2 shown]
	v_pk_add_f32 v[40:41], v[46:47], v[40:41]
	v_pk_add_f32 v[42:43], v[192:193], v[42:43]
	ds_write2_b64 v71, v[40:41], v[42:43] offset1:1
	v_pk_add_f32 v[42:43], v[150:151], v[220:221] neg_lo:[0,1] neg_hi:[0,1]
	v_pk_mul_f32 v[224:225], v[96:97], s[22:23]
	v_mov_b32_e32 v149, v43
	v_pk_add_f32 v[42:43], v[154:155], v[222:223] neg_lo:[0,1] neg_hi:[0,1]
	v_pk_mul_f32 v[226:227], v[98:99], s[30:31]
	v_mov_b32_e32 v153, v43
	;; [unrolled: 3-line block ×3, first 2 shown]
	v_pk_add_f32 v[42:43], v[160:161], v[226:227] neg_lo:[0,1] neg_hi:[0,1]
	v_pk_mul_f32 v[218:219], v[90:91], s[6:7]
	v_pk_mul_f32 v[230:231], v[90:91], s[0:1]
	v_mov_b32_e32 v163, v43
	v_pk_add_f32 v[42:43], v[164:165], v[228:229] neg_lo:[0,1] neg_hi:[0,1]
	v_pk_mul_f32 v[232:233], v[92:93], s[26:27]
	v_pk_add_f32 v[40:41], v[146:147], v[218:219] neg_lo:[0,1] neg_hi:[0,1]
	v_mov_b32_e32 v169, v43
	v_pk_add_f32 v[42:43], v[170:171], v[230:231] neg_lo:[0,1] neg_hi:[0,1]
	v_pk_mul_f32 v[234:235], v[94:95], s[50:51]
	v_mov_b32_e32 v145, v41
	v_mov_b32_e32 v167, v43
	v_pk_add_f32 v[44:45], v[174:175], v[232:233] neg_lo:[0,1] neg_hi:[0,1]
	v_pk_mul_f32 v[236:237], v[96:97], s[24:25]
	v_pk_add_f32 v[40:41], v[84:85], v[144:145]
	v_pk_add_f32 v[42:43], v[84:85], v[166:167]
	v_mov_b32_e32 v173, v45
	v_pk_add_f32 v[44:45], v[176:177], v[234:235] neg_lo:[0,1] neg_hi:[0,1]
	v_pk_mul_f32 v[238:239], v[98:99], s[6:7]
	v_pk_add_f32 v[40:41], v[148:149], v[40:41]
	v_pk_add_f32 v[42:43], v[172:173], v[42:43]
	;; [unrolled: 5-line block ×3, first 2 shown]
	v_mov_b32_e32 v181, v45
	v_pk_add_f32 v[44:45], v[186:187], v[238:239] neg_lo:[0,1] neg_hi:[0,1]
	v_pk_add_f32 v[40:41], v[158:159], v[40:41]
	v_pk_add_f32 v[42:43], v[180:181], v[42:43]
	v_mov_b32_e32 v185, v45
	v_pk_add_f32 v[44:45], v[190:191], v[240:241] neg_lo:[0,1] neg_hi:[0,1]
	v_pk_add_f32 v[40:41], v[162:163], v[40:41]
	v_pk_add_f32 v[42:43], v[184:185], v[42:43]
	v_mov_b32_e32 v189, v45
	v_pk_add_f32 v[40:41], v[168:169], v[40:41]
	v_pk_add_f32 v[42:43], v[188:189], v[42:43]
	ds_write2_b64 v71, v[40:41], v[42:43] offset0:2 offset1:3
	v_pk_mul_f32 v[40:41], v[102:103], s[28:29]
	v_pk_mul_f32 v[42:43], v[104:105], s[46:47]
	v_pk_fma_f32 v[52:53], v[90:91], s[16:17], v[40:41]
	v_pk_fma_f32 v[54:55], v[90:91], s[16:17], v[40:41] neg_lo:[1,0,0] neg_hi:[1,0,0]
	v_pk_fma_f32 v[56:57], v[92:93], s[22:23], v[42:43]
	v_mov_b32_e32 v54, v52
	v_pk_fma_f32 v[58:59], v[92:93], s[22:23], v[42:43] neg_lo:[1,0,0] neg_hi:[1,0,0]
	v_pk_mul_f32 v[44:45], v[106:107], s[20:21]
	v_pk_add_f32 v[54:55], v[84:85], v[54:55]
	v_mov_b32_e32 v58, v56
	v_pk_add_f32 v[54:55], v[58:59], v[54:55]
	v_pk_fma_f32 v[58:59], v[94:95], s[24:25], v[44:45]
	v_pk_fma_f32 v[62:63], v[94:95], s[24:25], v[44:45] neg_lo:[1,0,0] neg_hi:[1,0,0]
	v_pk_mul_f32 v[46:47], v[108:109], s[44:45]
	s_mov_b32 s45, 0x3e750f2a
	v_mov_b32_e32 v62, v58
	s_mov_b32 s48, s45
	s_mov_b32 s49, s41
	v_pk_add_f32 v[54:55], v[62:63], v[54:55]
	v_pk_fma_f32 v[62:63], v[96:97], s[0:1], v[46:47]
	v_pk_fma_f32 v[64:65], v[96:97], s[0:1], v[46:47] neg_lo:[1,0,0] neg_hi:[1,0,0]
	s_mov_b32 s44, s41
	v_pk_mul_f32 v[48:49], v[110:111], s[48:49]
	s_mov_b32 s47, 0x3f52af12
	v_mov_b32_e32 v64, v62
	s_mov_b32 s50, s47
	s_mov_b32 s51, s37
	v_pk_add_f32 v[54:55], v[64:65], v[54:55]
	v_pk_fma_f32 v[64:65], v[98:99], s[44:45], v[48:49]
	v_pk_fma_f32 v[124:125], v[98:99], s[44:45], v[48:49] neg_lo:[1,0,0] neg_hi:[1,0,0]
	s_mov_b32 s46, s37
	v_pk_mul_f32 v[50:51], v[114:115], s[50:51]
	v_mov_b32_e32 v124, v64
	v_pk_add_f32 v[54:55], v[124:125], v[54:55]
	v_pk_fma_f32 v[124:125], v[100:101], s[46:47], v[50:51]
	v_pk_fma_f32 v[126:127], v[100:101], s[46:47], v[50:51] neg_lo:[1,0,0] neg_hi:[1,0,0]
	v_pk_mul_f32 v[128:129], v[104:105], s[42:43]
	v_mov_b32_e32 v126, v124
	v_pk_add_f32 v[54:55], v[126:127], v[54:55]
	v_pk_mul_f32 v[126:127], v[102:103], s[34:35]
	v_pk_fma_f32 v[142:143], v[92:93], s[30:31], v[128:129]
	v_pk_fma_f32 v[138:139], v[90:91], s[18:19], v[126:127]
	v_pk_fma_f32 v[140:141], v[90:91], s[18:19], v[126:127] neg_lo:[1,0,0] neg_hi:[1,0,0]
	v_pk_fma_f32 v[144:145], v[92:93], s[30:31], v[128:129] neg_lo:[1,0,0] neg_hi:[1,0,0]
	v_mov_b32_e32 v140, v138
	v_pk_mul_f32 v[130:131], v[106:107], s[36:37]
	v_pk_add_f32 v[140:141], v[84:85], v[140:141]
	v_mov_b32_e32 v144, v142
	v_pk_add_f32 v[140:141], v[144:145], v[140:141]
	v_pk_fma_f32 v[144:145], v[94:95], s[6:7], v[130:131]
	v_pk_fma_f32 v[146:147], v[94:95], s[6:7], v[130:131] neg_lo:[1,0,0] neg_hi:[1,0,0]
	v_pk_mul_f32 v[132:133], v[108:109], s[48:49]
	v_mov_b32_e32 v146, v144
	v_pk_add_f32 v[140:141], v[146:147], v[140:141]
	v_pk_fma_f32 v[146:147], v[96:97], s[44:45], v[132:133]
	v_pk_fma_f32 v[148:149], v[96:97], s[44:45], v[132:133] neg_lo:[1,0,0] neg_hi:[1,0,0]
	v_pk_mul_f32 v[134:135], v[110:111], s[20:21]
	v_mov_b32_e32 v148, v146
	v_pk_add_f32 v[140:141], v[148:149], v[140:141]
	v_pk_fma_f32 v[148:149], v[98:99], s[24:25], v[134:135]
	v_pk_fma_f32 v[150:151], v[98:99], s[24:25], v[134:135] neg_lo:[1,0,0] neg_hi:[1,0,0]
	v_pk_mul_f32 v[136:137], v[114:115], s[28:29]
	v_mov_b32_e32 v150, v148
	v_pk_add_f32 v[140:141], v[150:151], v[140:141]
	v_pk_fma_f32 v[150:151], v[100:101], s[16:17], v[136:137]
	v_pk_fma_f32 v[152:153], v[100:101], s[16:17], v[136:137] neg_lo:[1,0,0] neg_hi:[1,0,0]
	v_pk_fma_f32 v[40:41], v[90:91], s[16:17], v[40:41] neg_lo:[0,0,1] neg_hi:[0,0,1]
	v_mov_b32_e32 v152, v150
	v_pk_add_f32 v[140:141], v[152:153], v[140:141]
	ds_write2_b64 v71, v[54:55], v[140:141] offset0:4 offset1:5
	v_pk_mul_f32 v[54:55], v[102:103], s[40:41]
	v_pk_mul_f32 v[102:103], v[104:105], s[20:21]
	;; [unrolled: 1-line block ×6, first 2 shown]
	v_pk_fma_f32 v[114:115], v[90:91], s[26:27], v[54:55]
	v_pk_fma_f32 v[140:141], v[90:91], s[26:27], v[54:55] neg_lo:[1,0,0] neg_hi:[1,0,0]
	v_pk_fma_f32 v[54:55], v[90:91], s[26:27], v[54:55] neg_lo:[0,0,1] neg_hi:[0,0,1]
	v_mov_b32_e32 v140, v114
	v_pk_fma_f32 v[152:153], v[92:93], s[24:25], v[102:103]
	v_pk_fma_f32 v[154:155], v[92:93], s[24:25], v[102:103] neg_lo:[1,0,0] neg_hi:[1,0,0]
	v_mov_b32_e32 v55, v115
	v_pk_fma_f32 v[102:103], v[92:93], s[24:25], v[102:103] neg_lo:[0,0,1] neg_hi:[0,0,1]
	v_pk_add_f32 v[140:141], v[84:85], v[140:141]
	v_mov_b32_e32 v154, v152
	v_pk_add_f32 v[54:55], v[84:85], v[54:55]
	v_mov_b32_e32 v103, v153
	v_pk_add_f32 v[140:141], v[154:155], v[140:141]
	v_pk_fma_f32 v[154:155], v[94:95], s[18:19], v[104:105]
	v_pk_fma_f32 v[156:157], v[94:95], s[18:19], v[104:105] neg_lo:[1,0,0] neg_hi:[1,0,0]
	v_pk_add_f32 v[54:55], v[102:103], v[54:55]
	v_pk_fma_f32 v[102:103], v[94:95], s[18:19], v[104:105] neg_lo:[0,0,1] neg_hi:[0,0,1]
	v_mov_b32_e32 v156, v154
	v_mov_b32_e32 v103, v155
	v_pk_add_f32 v[140:141], v[156:157], v[140:141]
	v_pk_fma_f32 v[156:157], v[96:97], s[46:47], v[106:107]
	v_pk_fma_f32 v[158:159], v[96:97], s[46:47], v[106:107] neg_lo:[1,0,0] neg_hi:[1,0,0]
	v_pk_add_f32 v[54:55], v[102:103], v[54:55]
	v_pk_fma_f32 v[102:103], v[96:97], s[46:47], v[106:107] neg_lo:[0,0,1] neg_hi:[0,0,1]
	v_mov_b32_e32 v158, v156
	;; [unrolled: 7-line block ×4, first 2 shown]
	v_mov_b32_e32 v103, v161
	v_pk_add_f32 v[140:141], v[162:163], v[140:141]
	v_pk_add_f32 v[54:55], v[102:103], v[54:55]
	ds_write2_b64 v71, v[140:141], v[54:55] offset0:6 offset1:7
	v_pk_fma_f32 v[54:55], v[90:91], s[18:19], v[126:127] neg_lo:[0,0,1] neg_hi:[0,0,1]
	v_pk_fma_f32 v[102:103], v[92:93], s[30:31], v[128:129] neg_lo:[0,0,1] neg_hi:[0,0,1]
	v_mov_b32_e32 v55, v139
	v_mov_b32_e32 v41, v53
	v_pk_fma_f32 v[42:43], v[92:93], s[22:23], v[42:43] neg_lo:[0,0,1] neg_hi:[0,0,1]
	v_pk_add_f32 v[54:55], v[84:85], v[54:55]
	v_mov_b32_e32 v103, v143
	v_pk_add_f32 v[40:41], v[84:85], v[40:41]
	v_mov_b32_e32 v43, v57
	v_pk_add_f32 v[54:55], v[102:103], v[54:55]
	v_pk_fma_f32 v[102:103], v[94:95], s[6:7], v[130:131] neg_lo:[0,0,1] neg_hi:[0,0,1]
	v_pk_add_f32 v[40:41], v[42:43], v[40:41]
	v_pk_fma_f32 v[42:43], v[94:95], s[24:25], v[44:45] neg_lo:[0,0,1] neg_hi:[0,0,1]
	v_mov_b32_e32 v103, v145
	v_mov_b32_e32 v43, v59
	v_pk_add_f32 v[54:55], v[102:103], v[54:55]
	v_pk_fma_f32 v[102:103], v[96:97], s[44:45], v[132:133] neg_lo:[0,0,1] neg_hi:[0,0,1]
	v_pk_add_f32 v[40:41], v[42:43], v[40:41]
	v_pk_fma_f32 v[42:43], v[96:97], s[0:1], v[46:47] neg_lo:[0,0,1] neg_hi:[0,0,1]
	v_mov_b32_e32 v103, v147
	;; [unrolled: 6-line block ×4, first 2 shown]
	v_mov_b32_e32 v43, v125
	v_pk_add_f32 v[54:55], v[102:103], v[54:55]
	v_pk_add_f32 v[40:41], v[42:43], v[40:41]
	ds_write2_b64 v71, v[54:55], v[40:41] offset0:8 offset1:9
	ds_write2_b64 v71, v[88:89], v[86:87] offset0:10 offset1:11
	ds_write_b64 v71, v[60:61] offset:96
.LBB0_19:
	s_or_b64 exec, exec, s[38:39]
	v_add_u32_e32 v40, 0x1400, v67
	s_waitcnt lgkmcnt(0)
	s_barrier
	ds_read2_b64 v[40:43], v40 offset0:88 offset1:179
	v_add_u32_e32 v44, 0x400, v67
	ds_read2_b64 v[48:51], v44 offset0:54 offset1:145
	s_waitcnt lgkmcnt(1)
	v_pk_mul_f32 v[44:45], v[78:79], v[40:41]
	s_nop 0
	v_pk_fma_f32 v[46:47], v[122:123], v[40:41], v[44:45] op_sel:[0,0,1] op_sel_hi:[1,1,0]
	v_pk_fma_f32 v[40:41], v[122:123], v[40:41], v[44:45] op_sel:[0,0,1] op_sel_hi:[1,1,0] neg_lo:[0,0,1] neg_hi:[0,0,1]
	v_pk_mul_f32 v[44:45], v[80:81], v[42:43]
	v_mov_b32_e32 v47, v41
	s_waitcnt lgkmcnt(0)
	v_pk_add_f32 v[40:41], v[50:51], v[46:47] neg_lo:[0,1] neg_hi:[0,1]
	v_add_u32_e32 v46, 0x800, v67
	ds_read2_b64 v[52:55], v46 offset0:108 offset1:199
	v_add_u32_e32 v47, 0x1000, v67
	ds_read2_b64 v[56:59], v47 offset0:34 offset1:125
	v_pk_fma_f32 v[62:63], v[120:121], v[42:43], v[44:45] op_sel:[0,0,1] op_sel_hi:[1,1,0]
	v_pk_fma_f32 v[42:43], v[120:121], v[42:43], v[44:45] op_sel:[0,0,1] op_sel_hi:[1,1,0] neg_lo:[0,0,1] neg_hi:[0,0,1]
	s_nop 0
	v_mov_b32_e32 v63, v43
	s_waitcnt lgkmcnt(1)
	v_pk_add_f32 v[44:45], v[52:53], v[62:63] neg_lo:[0,1] neg_hi:[0,1]
	s_nop 0
	v_pk_fma_f32 v[42:43], v[52:53], 2.0, v[44:45] op_sel_hi:[1,0,1] neg_lo:[0,0,1] neg_hi:[0,0,1]
	s_waitcnt lgkmcnt(0)
	v_pk_mul_f32 v[52:53], v[74:75], v[58:59]
	s_nop 0
	v_pk_fma_f32 v[62:63], v[118:119], v[58:59], v[52:53] op_sel:[0,0,1] op_sel_hi:[1,1,0]
	v_pk_fma_f32 v[52:53], v[118:119], v[58:59], v[52:53] op_sel:[0,0,1] op_sel_hi:[1,1,0] neg_lo:[0,0,1] neg_hi:[0,0,1]
	v_pk_mul_f32 v[58:59], v[76:77], v[56:57]
	v_mov_b32_e32 v63, v53
	v_pk_add_f32 v[52:53], v[48:49], v[62:63] neg_lo:[0,1] neg_hi:[0,1]
	ds_read2_b64 v[62:65], v67 offset1:91
	v_pk_fma_f32 v[74:75], v[116:117], v[56:57], v[58:59] op_sel:[0,0,1] op_sel_hi:[1,1,0]
	v_pk_fma_f32 v[56:57], v[116:117], v[56:57], v[58:59] op_sel:[0,0,1] op_sel_hi:[1,1,0] neg_lo:[0,0,1] neg_hi:[0,0,1]
	v_pk_fma_f32 v[48:49], v[48:49], 2.0, v[52:53] op_sel_hi:[1,0,1] neg_lo:[0,0,1] neg_hi:[0,0,1]
	v_mov_b32_e32 v75, v57
	s_waitcnt lgkmcnt(0)
	v_pk_add_f32 v[56:57], v[64:65], v[74:75] neg_lo:[0,1] neg_hi:[0,1]
	s_nop 0
	v_pk_fma_f32 v[58:59], v[64:65], 2.0, v[56:57] op_sel_hi:[1,0,1] neg_lo:[0,0,1] neg_hi:[0,0,1]
	v_pk_mul_f32 v[64:65], v[72:73], v[54:55]
	s_barrier
	v_pk_fma_f32 v[72:73], v[112:113], v[54:55], v[64:65] op_sel:[0,0,1] op_sel_hi:[1,1,0]
	v_pk_fma_f32 v[54:55], v[112:113], v[54:55], v[64:65] op_sel:[0,0,1] op_sel_hi:[1,1,0] neg_lo:[0,0,1] neg_hi:[0,0,1]
	s_nop 0
	v_mov_b32_e32 v73, v55
	v_pk_add_f32 v[54:55], v[62:63], v[72:73] neg_lo:[0,1] neg_hi:[0,1]
	s_nop 0
	v_pk_fma_f32 v[62:63], v[62:63], 2.0, v[54:55] op_sel_hi:[1,0,1] neg_lo:[0,0,1] neg_hi:[0,0,1]
	ds_write2_b64 v200, v[62:63], v[54:55] offset1:13
	ds_write2_b64 v202, v[58:59], v[56:57] offset1:13
	;; [unrolled: 1-line block ×3, first 2 shown]
	v_pk_fma_f32 v[48:49], v[50:51], 2.0, v[40:41] op_sel_hi:[1,0,1] neg_lo:[0,0,1] neg_hi:[0,0,1]
	ds_write2_b64 v203, v[48:49], v[40:41] offset1:13
	ds_write2_b64 v204, v[42:43], v[44:45] offset1:13
	s_waitcnt lgkmcnt(0)
	s_barrier
	ds_read2_b64 v[48:51], v67 offset1:130
	ds_read2_b64 v[62:65], v46 offset0:4 offset1:134
	ds_read2_b64 v[52:55], v47 offset0:8 offset1:138
	ds_read_b64 v[84:85], v67 offset:6240
	s_and_saveexec_b64 s[0:1], s[2:3]
	s_cbranch_execz .LBB0_21
; %bb.20:
	ds_read2_b64 v[40:43], v67 offset0:91 offset1:221
	ds_read2_b64 v[58:61], v47 offset0:99 offset1:229
	;; [unrolled: 1-line block ×3, first 2 shown]
	ds_read_b64 v[10:11], v67 offset:6968
	s_waitcnt lgkmcnt(2)
	v_mov_b64_e32 v[86:87], v[58:59]
	s_waitcnt lgkmcnt(1)
	v_mov_b64_e32 v[88:89], v[46:47]
.LBB0_21:
	s_or_b64 exec, exec, s[0:1]
	s_waitcnt lgkmcnt(2)
	v_pk_mul_f32 v[102:103], v[20:21], v[64:65] op_sel:[0,1] op_sel_hi:[1,0]
	v_pk_mul_f32 v[90:91], v[16:17], v[50:51] op_sel_hi:[1,0]
	v_mov_b32_e32 v92, v51
	v_mov_b32_e32 v102, v103
	s_waitcnt lgkmcnt(1)
	v_pk_mul_f32 v[104:105], v[22:23], v[52:53] op_sel:[0,1] op_sel_hi:[1,0]
	v_pk_mul_f32 v[94:95], v[18:19], v[62:63] op_sel_hi:[1,0]
	v_mov_b32_e32 v96, v63
	v_pk_mul_f32 v[98:99], v[20:21], v[64:65]
	v_mov_b32_e32 v100, v21
	v_pk_fma_f32 v[20:21], v[20:21], v[64:65], v[102:103] op_sel:[0,1,0] op_sel_hi:[1,0,1] neg_lo:[0,0,1] neg_hi:[0,0,1]
	v_mov_b32_e32 v102, v23
	v_mov_b32_e32 v104, v105
	v_pk_fma_f32 v[92:93], v[16:17], v[92:93], v[90:91] op_sel:[0,0,1] op_sel_hi:[1,1,0] neg_lo:[0,0,1] neg_hi:[0,0,1]
	v_pk_fma_f32 v[16:17], v[16:17], v[50:51], v[90:91] op_sel:[0,1,1] op_sel_hi:[1,1,0]
	v_pk_mul_f32 v[100:101], v[100:101], v[64:65] op_sel:[0,1] op_sel_hi:[1,0]
	v_pk_mul_f32 v[64:65], v[22:23], v[52:53]
	v_pk_mul_f32 v[102:103], v[102:103], v[52:53] op_sel:[0,1] op_sel_hi:[1,0]
	v_pk_fma_f32 v[22:23], v[22:23], v[52:53], v[104:105] op_sel:[0,1,0] op_sel_hi:[1,0,1] neg_lo:[0,0,1] neg_hi:[0,0,1]
	v_pk_mul_f32 v[52:53], v[12:13], v[54:55] op_sel_hi:[1,0]
	v_mov_b32_e32 v104, v55
	v_mov_b32_e32 v93, v17
	v_pk_fma_f32 v[16:17], v[18:19], v[96:97], v[94:95] op_sel:[0,0,1] op_sel_hi:[1,1,0] neg_lo:[0,0,1] neg_hi:[0,0,1]
	v_pk_fma_f32 v[18:19], v[18:19], v[62:63], v[94:95] op_sel:[0,1,1] op_sel_hi:[1,1,0]
	s_waitcnt lgkmcnt(0)
	v_pk_mul_f32 v[106:107], v[14:15], v[84:85] op_sel_hi:[1,0]
	v_mov_b32_e32 v108, v85
	v_mov_b32_e32 v17, v19
	v_pk_fma_f32 v[18:19], v[12:13], v[104:105], v[52:53] op_sel:[0,0,1] op_sel_hi:[1,1,0] neg_lo:[0,0,1] neg_hi:[0,0,1]
	v_pk_fma_f32 v[12:13], v[12:13], v[54:55], v[52:53] op_sel:[0,1,1] op_sel_hi:[1,1,0]
	v_mov_b32_e32 v65, v92
	v_mov_b32_e32 v19, v13
	v_pk_fma_f32 v[12:13], v[14:15], v[108:109], v[106:107] op_sel:[0,0,1] op_sel_hi:[1,1,0] neg_lo:[0,0,1] neg_hi:[0,0,1]
	v_pk_fma_f32 v[14:15], v[14:15], v[84:85], v[106:107] op_sel:[0,1,1] op_sel_hi:[1,1,0]
	v_mov_b32_e32 v103, v12
	v_mov_b32_e32 v13, v15
	;; [unrolled: 1-line block ×4, first 2 shown]
	v_pk_add_f32 v[14:15], v[92:93], v[12:13]
	v_pk_add_f32 v[50:51], v[92:93], v[12:13] neg_lo:[0,1] neg_hi:[0,1]
	v_pk_add_f32 v[52:53], v[16:17], v[18:19]
	v_pk_add_f32 v[54:55], v[16:17], v[18:19] neg_lo:[0,1] neg_hi:[0,1]
	v_pk_add_f32 v[12:13], v[64:65], v[102:103]
	v_pk_add_f32 v[16:17], v[98:99], v[100:101]
	v_mov_b32_e32 v23, v12
	v_mov_b32_e32 v21, v16
	v_pk_add_f32 v[18:19], v[22:23], v[20:21] neg_lo:[0,1] neg_hi:[0,1]
	v_mov_b32_e32 v90, v53
	v_mov_b32_e32 v91, v20
	;; [unrolled: 1-line block ×4, first 2 shown]
	v_pk_add_f32 v[20:21], v[90:91], v[20:21]
	v_pk_add_f32 v[22:23], v[16:17], v[12:13]
	v_mov_b32_e32 v62, v18
	v_mov_b32_e32 v63, v51
	;; [unrolled: 1-line block ×4, first 2 shown]
	s_mov_b32 s6, 0x3f08b237
	v_mov_b32_e32 v12, v22
	v_mov_b32_e32 v91, v21
	s_mov_b32 s24, 0x3d64c772
	v_pk_add_f32 v[62:63], v[62:63], v[64:65] neg_lo:[0,1] neg_hi:[0,1]
	s_mov_b32 s7, 0xbeae86e6
	v_mov_b32_e32 v64, v50
	v_mov_b32_e32 v84, v18
	;; [unrolled: 1-line block ×3, first 2 shown]
	v_pk_add_f32 v[90:91], v[12:13], v[90:91] neg_lo:[0,1] neg_hi:[0,1]
	v_mov_b32_e32 v92, v15
	v_mov_b32_e32 v93, v21
	;; [unrolled: 1-line block ×3, first 2 shown]
	v_pk_add_f32 v[20:21], v[20:21], v[22:23]
	s_mov_b32 s25, 0x3f4a47b2
	v_pk_mul_f32 v[62:63], v[62:63], s[6:7]
	v_pk_add_f32 v[64:65], v[64:65], v[84:85] neg_lo:[0,1] neg_hi:[0,1]
	s_mov_b32 s20, s7
	s_mov_b32 s21, s6
	v_pk_add_f32 v[18:19], v[18:19], v[54:55]
	v_pk_add_f32 v[92:93], v[92:93], v[16:17] neg_lo:[0,1] neg_hi:[0,1]
	v_pk_add_f32 v[22:23], v[48:49], v[20:21]
	s_mov_b32 s22, 0xbf955555
	v_pk_mul_f32 v[48:49], v[90:91], s[24:25]
	s_mov_b32 s26, s25
	s_mov_b32 s27, s24
	v_pk_mul_f32 v[84:85], v[64:65], s[20:21]
	v_pk_add_f32 v[18:19], v[18:19], v[50:51]
	s_mov_b32 s0, 0xbee1c552
	v_pk_mul_f32 v[90:91], v[92:93], s[26:27]
	v_pk_fma_f32 v[20:21], v[20:21], s[22:23], v[22:23] op_sel_hi:[1,0,1]
	v_pk_fma_f32 v[92:93], v[92:93], s[26:27], v[48:49]
	v_pk_fma_f32 v[64:65], v[64:65], s[20:21], v[62:63]
	v_pk_add_f32 v[92:93], v[92:93], v[20:21]
	v_pk_fma_f32 v[64:65], v[18:19], s[0:1], v[64:65] op_sel_hi:[1,0,1]
	v_mov_b32_e32 v16, v53
	v_pk_add_f32 v[94:95], v[92:93], v[64:65]
	v_pk_add_f32 v[64:65], v[92:93], v[64:65] neg_lo:[0,1] neg_hi:[0,1]
	v_mov_b32_e32 v92, v94
	v_mov_b32_e32 v93, v65
	;; [unrolled: 1-line block ×3, first 2 shown]
	s_barrier
	ds_write2_b64 v205, v[22:23], v[92:93] offset1:26
	v_pk_add_f32 v[22:23], v[54:55], v[50:51] neg_lo:[0,1] neg_hi:[0,1]
	s_mov_b32 s16, 0xbf5ff5aa
	v_pk_add_f32 v[12:13], v[16:17], v[12:13] neg_lo:[0,1] neg_hi:[0,1]
	s_mov_b32 s18, 0x3f3bfb3b
	v_mov_b32_e32 v14, v90
	v_mov_b32_e32 v15, v49
	;; [unrolled: 1-line block ×6, first 2 shown]
	v_pk_fma_f32 v[14:15], v[12:13], s[18:19], v[14:15] op_sel_hi:[1,0,1] neg_lo:[1,0,1] neg_hi:[1,0,1]
	v_pk_fma_f32 v[16:17], v[22:23], s[16:17], v[16:17] op_sel_hi:[1,0,1] neg_lo:[1,0,1] neg_hi:[1,0,1]
	;; [unrolled: 1-line block ×4, first 2 shown]
	v_pk_add_f32 v[14:15], v[14:15], v[20:21]
	v_pk_fma_f32 v[16:17], v[18:19], s[0:1], v[16:17] op_sel_hi:[1,0,1]
	v_pk_add_f32 v[12:13], v[12:13], v[20:21]
	v_pk_fma_f32 v[18:19], v[18:19], s[0:1], v[22:23] op_sel_hi:[1,0,1]
	v_pk_add_f32 v[50:51], v[14:15], v[16:17]
	v_pk_add_f32 v[14:15], v[14:15], v[16:17] neg_lo:[0,1] neg_hi:[0,1]
	v_pk_add_f32 v[20:21], v[12:13], v[18:19] neg_lo:[0,1] neg_hi:[0,1]
	v_pk_add_f32 v[12:13], v[12:13], v[18:19]
	v_mov_b32_e32 v46, v30
	v_mov_b32_e32 v47, v30
	;; [unrolled: 1-line block ×24, first 2 shown]
	v_add_u32_e32 v71, 0x2d8, v196
	v_mov_b32_e32 v16, v50
	v_mov_b32_e32 v17, v15
	;; [unrolled: 1-line block ×7, first 2 shown]
	ds_write2_b64 v205, v[16:17], v[18:19] offset0:52 offset1:78
	ds_write2_b64 v205, v[12:13], v[14:15] offset0:104 offset1:130
	ds_write_b64 v205, v[64:65] offset:1248
	s_and_saveexec_b64 s[28:29], s[2:3]
	s_cbranch_execz .LBB0_23
; %bb.22:
	v_pk_mul_f32 v[18:19], v[6:7], v[10:11] op_sel_hi:[1,0]
	v_mov_b32_e32 v10, v11
	v_mov_b32_e32 v14, v9
	;; [unrolled: 1-line block ×3, first 2 shown]
	v_pk_mul_f32 v[16:17], v[0:1], v[42:43] op_sel_hi:[1,0]
	v_pk_fma_f32 v[54:55], v[6:7], v[10:11], v[18:19] op_sel:[0,0,1] op_sel_hi:[1,0,0] neg_lo:[0,0,1] neg_hi:[0,0,1]
	v_pk_fma_f32 v[6:7], v[6:7], v[10:11], v[18:19] op_sel:[0,0,1] op_sel_hi:[1,0,0]
	v_pk_mul_f32 v[8:9], v[8:9], v[88:89]
	v_pk_mul_f32 v[50:51], v[4:5], v[60:61] op_sel_hi:[1,0]
	v_pk_mul_f32 v[52:53], v[14:15], v[88:89]
	v_mov_b32_e32 v55, v7
	v_pk_fma_f32 v[6:7], v[0:1], v[42:43], v[16:17] op_sel:[0,1,1] op_sel_hi:[1,1,0] neg_lo:[0,0,1] neg_hi:[0,0,1]
	v_pk_fma_f32 v[0:1], v[0:1], v[42:43], v[16:17] op_sel:[0,1,1] op_sel_hi:[1,1,0]
	v_mov_b32_e32 v12, v83
	v_mov_b32_e32 v13, v82
	;; [unrolled: 1-line block ×4, first 2 shown]
	v_pk_mul_f32 v[48:49], v[2:3], v[44:45] op_sel_hi:[1,0]
	v_mov_b32_e32 v52, v53
	v_mul_u32_u24_e32 v9, 0xb6, v197
	v_mov_b32_e32 v7, v1
	v_pk_fma_f32 v[0:1], v[4:5], v[60:61], v[50:51] op_sel:[0,1,1] op_sel_hi:[1,1,0] neg_lo:[0,0,1] neg_hi:[0,0,1]
	v_pk_fma_f32 v[4:5], v[4:5], v[60:61], v[50:51] op_sel:[0,1,1] op_sel_hi:[1,1,0]
	v_pk_mul_f32 v[12:13], v[12:13], v[86:87]
	v_pk_mul_f32 v[20:21], v[82:83], v[20:21]
	;; [unrolled: 1-line block ×3, first 2 shown]
	v_pk_fma_f32 v[14:15], v[14:15], v[88:89], v[52:53] neg_lo:[1,0,0] neg_hi:[1,0,0]
	v_pk_mul_f32 v[52:53], v[82:83], v[86:87]
	v_add_u32_e32 v9, v9, v198
	v_mov_b32_e32 v1, v5
	v_pk_fma_f32 v[4:5], v[2:3], v[44:45], v[48:49] op_sel:[0,1,1] op_sel_hi:[1,1,0] neg_lo:[0,0,1] neg_hi:[0,0,1]
	v_pk_fma_f32 v[2:3], v[2:3], v[44:45], v[48:49] op_sel:[0,1,1] op_sel_hi:[1,1,0]
	v_mov_b32_e32 v52, v53
	v_lshl_add_u32 v62, v9, 3, v69
	v_mov_b32_e32 v5, v3
	v_mov_b32_e32 v13, v54
	v_mov_b32_e32 v21, v6
	v_mov_b32_e32 v9, v0
	v_mov_b32_e32 v23, v4
	v_pk_fma_f32 v[52:53], v[82:83], v[86:87], v[52:53] neg_lo:[1,0,0] neg_hi:[1,0,0]
	v_pk_add_f32 v[2:3], v[54:55], v[6:7]
	v_pk_add_f32 v[10:11], v[0:1], v[4:5]
	v_pk_add_f32 v[16:17], v[6:7], v[54:55] neg_lo:[0,1] neg_hi:[0,1]
	v_pk_add_f32 v[18:19], v[4:5], v[0:1] neg_lo:[0,1] neg_hi:[0,1]
	v_pk_add_f32 v[6:7], v[12:13], v[20:21]
	v_pk_add_f32 v[0:1], v[8:9], v[22:23]
	v_mov_b32_e32 v53, v6
	v_mov_b32_e32 v15, v0
	v_pk_add_f32 v[4:5], v[52:53], v[14:15] neg_lo:[0,1] neg_hi:[0,1]
	v_mov_b32_e32 v23, v17
	v_mov_b32_e32 v12, v4
	v_pk_add_f32 v[20:21], v[4:5], v[18:19]
	v_mov_b32_e32 v22, v4
	v_mov_b32_e32 v4, v18
	;; [unrolled: 1-line block ×3, first 2 shown]
	v_pk_add_f32 v[4:5], v[22:23], v[4:5] neg_lo:[0,1] neg_hi:[0,1]
	v_mov_b32_e32 v22, v11
	v_mov_b32_e32 v23, v14
	;; [unrolled: 1-line block ×4, first 2 shown]
	v_pk_add_f32 v[14:15], v[22:23], v[14:15]
	v_pk_add_f32 v[22:23], v[0:1], v[6:7]
	v_mov_b32_e32 v8, v16
	v_pk_add_f32 v[42:43], v[14:15], v[22:23]
	v_mov_b32_e32 v14, v3
	v_mov_b32_e32 v23, v1
	;; [unrolled: 1-line block ×3, first 2 shown]
	v_pk_add_f32 v[44:45], v[14:15], v[22:23] neg_lo:[0,1] neg_hi:[0,1]
	v_mov_b32_e32 v23, v7
	v_mov_b32_e32 v14, v11
	v_pk_add_f32 v[8:9], v[8:9], v[12:13] neg_lo:[0,1] neg_hi:[0,1]
	v_pk_add_f32 v[14:15], v[22:23], v[14:15] neg_lo:[0,1] neg_hi:[0,1]
	v_pk_mul_f32 v[12:13], v[8:9], s[20:21]
	v_pk_mul_f32 v[4:5], v[4:5], s[6:7]
	v_pk_mul_f32 v[48:49], v[44:45], s[26:27]
	v_pk_mul_f32 v[14:15], v[14:15], s[24:25]
	v_mov_b32_e32 v0, v11
	v_mov_b32_e32 v6, v3
	v_pk_add_f32 v[20:21], v[20:21], v[16:17]
	v_pk_fma_f32 v[8:9], v[8:9], s[20:21], v[4:5]
	v_pk_add_f32 v[40:41], v[40:41], v[42:43]
	v_pk_fma_f32 v[22:23], v[44:45], s[26:27], v[14:15]
	v_pk_add_f32 v[16:17], v[18:19], v[16:17] neg_lo:[0,1] neg_hi:[0,1]
	v_mov_b32_e32 v18, v12
	v_mov_b32_e32 v19, v5
	v_pk_add_f32 v[0:1], v[0:1], v[6:7] neg_lo:[0,1] neg_hi:[0,1]
	v_mov_b32_e32 v2, v48
	v_mov_b32_e32 v3, v15
	;; [unrolled: 1-line block ×4, first 2 shown]
	v_pk_fma_f32 v[42:43], v[42:43], s[22:23], v[40:41] op_sel_hi:[1,0,1]
	v_pk_fma_f32 v[18:19], v[16:17], s[16:17], v[18:19] op_sel_hi:[1,0,1] neg_lo:[1,0,1] neg_hi:[1,0,1]
	v_pk_fma_f32 v[2:3], v[0:1], s[18:19], v[2:3] op_sel_hi:[1,0,1] neg_lo:[1,0,1] neg_hi:[1,0,1]
	v_pk_fma_f32 v[4:5], v[16:17], s[16:17], v[4:5] op_sel_hi:[1,0,1] neg_lo:[0,0,1] neg_hi:[0,0,1]
	v_pk_fma_f32 v[0:1], v[0:1], s[18:19], v[14:15] op_sel_hi:[1,0,1] neg_lo:[0,0,1] neg_hi:[0,0,1]
	v_pk_fma_f32 v[8:9], v[20:21], s[0:1], v[8:9] op_sel_hi:[1,0,1]
	v_pk_add_f32 v[22:23], v[22:23], v[42:43]
	v_pk_fma_f32 v[18:19], v[20:21], s[0:1], v[18:19] op_sel_hi:[1,0,1]
	v_pk_add_f32 v[2:3], v[2:3], v[42:43]
	;; [unrolled: 2-line block ×3, first 2 shown]
	v_pk_add_f32 v[44:45], v[22:23], v[8:9]
	v_pk_add_f32 v[8:9], v[22:23], v[8:9] neg_lo:[0,1] neg_hi:[0,1]
	v_pk_add_f32 v[6:7], v[2:3], v[18:19]
	v_pk_add_f32 v[2:3], v[2:3], v[18:19] neg_lo:[0,1] neg_hi:[0,1]
	v_pk_add_f32 v[12:13], v[0:1], v[4:5] neg_lo:[0,1] neg_hi:[0,1]
	v_pk_add_f32 v[0:1], v[0:1], v[4:5]
	v_mov_b32_e32 v22, v44
	v_mov_b32_e32 v23, v9
	;; [unrolled: 1-line block ×9, first 2 shown]
	ds_write2_b64 v62, v[40:41], v[22:23] offset1:26
	ds_write2_b64 v62, v[10:11], v[4:5] offset0:52 offset1:78
	ds_write2_b64 v62, v[0:1], v[2:3] offset0:104 offset1:130
	ds_write_b64 v62, v[8:9] offset:1248
.LBB0_23:
	s_or_b64 exec, exec, s[28:29]
	v_add_u32_e32 v4, 0x400, v67
	s_waitcnt lgkmcnt(0)
	s_barrier
	ds_read2_b64 v[4:7], v4 offset0:54 offset1:145
	v_add_u32_e32 v8, 0x800, v67
	ds_read2_b64 v[8:11], v8 offset0:108 offset1:199
	v_add_u32_e32 v12, 0x1000, v67
	;; [unrolled: 2-line block ×3, first 2 shown]
	s_waitcnt lgkmcnt(2)
	v_pk_mul_f32 v[20:21], v[36:37], v[4:5]
	ds_read2_b64 v[16:19], v16 offset0:88 offset1:179
	v_pk_fma_f32 v[22:23], v[80:81], v[4:5], v[20:21] op_sel:[0,0,1] op_sel_hi:[1,1,0]
	v_pk_fma_f32 v[4:5], v[80:81], v[4:5], v[20:21] op_sel:[0,0,1] op_sel_hi:[1,1,0] neg_lo:[0,0,1] neg_hi:[0,0,1]
	ds_read2_b64 v[0:3], v67 offset1:91
	v_mov_b32_e32 v23, v5
	s_waitcnt lgkmcnt(3)
	v_pk_mul_f32 v[4:5], v[38:39], v[8:9]
	s_mov_b32 s0, 0x3f737871
	v_pk_fma_f32 v[20:21], v[78:79], v[8:9], v[4:5] op_sel:[0,0,1] op_sel_hi:[1,1,0]
	v_pk_fma_f32 v[4:5], v[78:79], v[8:9], v[4:5] op_sel:[0,0,1] op_sel_hi:[1,1,0] neg_lo:[0,0,1] neg_hi:[0,0,1]
	s_mov_b32 s6, 0x3f167918
	v_mov_b32_e32 v21, v5
	s_waitcnt lgkmcnt(2)
	v_pk_mul_f32 v[4:5], v[28:29], v[12:13]
	s_mov_b32 s16, 0x3e9e377a
	v_pk_fma_f32 v[8:9], v[76:77], v[12:13], v[4:5] op_sel:[0,0,1] op_sel_hi:[1,1,0]
	v_pk_fma_f32 v[4:5], v[76:77], v[12:13], v[4:5] op_sel:[0,0,1] op_sel_hi:[1,1,0] neg_lo:[0,0,1] neg_hi:[0,0,1]
	s_movk_i32 s2, 0x1000
	v_mov_b32_e32 v9, v5
	s_waitcnt lgkmcnt(1)
	v_pk_mul_f32 v[4:5], v[30:31], v[16:17]
	s_nop 0
	v_pk_fma_f32 v[12:13], v[46:47], v[16:17], v[4:5] op_sel:[0,0,1] op_sel_hi:[1,1,0]
	v_pk_fma_f32 v[4:5], v[46:47], v[16:17], v[4:5] op_sel:[0,0,1] op_sel_hi:[1,1,0] neg_lo:[0,0,1] neg_hi:[0,0,1]
	v_pk_mul_f32 v[16:17], v[32:33], v[6:7]
	v_mov_b32_e32 v13, v5
	v_pk_fma_f32 v[28:29], v[74:75], v[6:7], v[16:17] op_sel:[0,0,1] op_sel_hi:[1,1,0]
	v_pk_fma_f32 v[6:7], v[74:75], v[6:7], v[16:17] op_sel:[0,0,1] op_sel_hi:[1,1,0] neg_lo:[0,0,1] neg_hi:[0,0,1]
	s_waitcnt lgkmcnt(0)
	v_pk_add_f32 v[4:5], v[0:1], v[22:23]
	v_mov_b32_e32 v29, v7
	v_pk_mul_f32 v[6:7], v[34:35], v[10:11]
	v_pk_add_f32 v[4:5], v[4:5], v[20:21]
	v_pk_fma_f32 v[16:17], v[72:73], v[10:11], v[6:7] op_sel:[0,0,1] op_sel_hi:[1,1,0]
	v_pk_fma_f32 v[6:7], v[72:73], v[10:11], v[6:7] op_sel:[0,0,1] op_sel_hi:[1,1,0] neg_lo:[0,0,1] neg_hi:[0,0,1]
	v_pk_add_f32 v[4:5], v[4:5], v[8:9]
	v_mov_b32_e32 v17, v7
	v_pk_mul_f32 v[6:7], v[24:25], v[14:15]
	v_pk_add_f32 v[4:5], v[4:5], v[12:13]
	v_pk_fma_f32 v[10:11], v[58:59], v[14:15], v[6:7] op_sel:[0,0,1] op_sel_hi:[1,1,0]
	v_pk_fma_f32 v[6:7], v[58:59], v[14:15], v[6:7] op_sel:[0,0,1] op_sel_hi:[1,1,0] neg_lo:[0,0,1] neg_hi:[0,0,1]
	ds_write_b64 v196, v[4:5]
	v_mov_b32_e32 v11, v7
	v_pk_mul_f32 v[6:7], v[26:27], v[18:19]
	v_pk_add_f32 v[4:5], v[20:21], v[8:9]
	v_pk_fma_f32 v[14:15], v[56:57], v[18:19], v[6:7] op_sel:[0,0,1] op_sel_hi:[1,1,0]
	v_pk_fma_f32 v[6:7], v[56:57], v[18:19], v[6:7] op_sel:[0,0,1] op_sel_hi:[1,1,0] neg_lo:[0,0,1] neg_hi:[0,0,1]
	v_pk_add_f32 v[18:19], v[22:23], v[12:13] neg_lo:[0,1] neg_hi:[0,1]
	v_pk_fma_f32 v[4:5], v[4:5], 0.5, v[0:1] op_sel_hi:[1,0,1] neg_lo:[1,0,0] neg_hi:[1,0,0]
	v_pk_mul_f32 v[24:25], v[18:19], s[0:1] op_sel_hi:[1,0]
	v_pk_add_f32 v[26:27], v[20:21], v[8:9] neg_lo:[0,1] neg_hi:[0,1]
	v_pk_add_f32 v[32:33], v[22:23], v[20:21] neg_lo:[0,1] neg_hi:[0,1]
	;; [unrolled: 1-line block ×3, first 2 shown]
	v_pk_mul_f32 v[30:31], v[26:27], s[6:7] op_sel_hi:[1,0]
	v_pk_add_f32 v[32:33], v[32:33], v[34:35]
	v_pk_add_f32 v[34:35], v[4:5], v[24:25] op_sel:[0,1] op_sel_hi:[1,0] neg_lo:[0,1] neg_hi:[0,1]
	v_pk_add_f32 v[4:5], v[4:5], v[24:25] op_sel:[0,1] op_sel_hi:[1,0]
	v_pk_add_f32 v[24:25], v[34:35], v[30:31] op_sel:[0,1] op_sel_hi:[1,0] neg_lo:[0,1] neg_hi:[0,1]
	v_pk_add_f32 v[34:35], v[22:23], v[12:13]
	v_pk_add_f32 v[20:21], v[20:21], v[22:23] neg_lo:[0,1] neg_hi:[0,1]
	v_pk_fma_f32 v[0:1], v[34:35], 0.5, v[0:1] op_sel_hi:[1,0,1] neg_lo:[1,0,0] neg_hi:[1,0,0]
	v_pk_add_f32 v[8:9], v[8:9], v[12:13] neg_lo:[0,1] neg_hi:[0,1]
	v_pk_mul_f32 v[12:13], v[26:27], s[0:1] op_sel_hi:[1,0]
	v_pk_add_f32 v[8:9], v[20:21], v[8:9]
	v_pk_mul_f32 v[18:19], v[18:19], s[6:7] op_sel_hi:[1,0]
	v_pk_add_f32 v[20:21], v[0:1], v[12:13] op_sel:[0,1] op_sel_hi:[1,0]
	v_pk_add_f32 v[0:1], v[0:1], v[12:13] op_sel:[0,1] op_sel_hi:[1,0] neg_lo:[0,1] neg_hi:[0,1]
	v_pk_add_f32 v[12:13], v[20:21], v[18:19] op_sel:[0,1] op_sel_hi:[1,0] neg_lo:[0,1] neg_hi:[0,1]
	v_pk_add_f32 v[0:1], v[0:1], v[18:19] op_sel:[0,1] op_sel_hi:[1,0]
	v_pk_add_f32 v[4:5], v[4:5], v[30:31] op_sel:[0,1] op_sel_hi:[1,0]
	v_mov_b32_e32 v18, v12
	v_mov_b32_e32 v19, v1
	;; [unrolled: 1-line block ×4, first 2 shown]
	v_pk_add_f32 v[6:7], v[2:3], v[28:29]
	v_mov_b32_e32 v31, v5
	v_pk_fma_f32 v[18:19], v[8:9], s[16:17], v[18:19] op_sel_hi:[1,0,1]
	v_pk_fma_f32 v[0:1], v[8:9], s[16:17], v[0:1] op_sel_hi:[1,0,1]
	v_add_u32_e32 v5, 0xa00, v196
	v_pk_add_f32 v[6:7], v[6:7], v[16:17]
	ds_write2_b64 v5, v[18:19], v[0:1] offset0:44 offset1:226
	v_mov_b32_e32 v5, v25
	v_pk_add_f32 v[6:7], v[6:7], v[10:11]
	v_mov_b32_e32 v30, v24
	v_pk_fma_f32 v[0:1], v[32:33], s[16:17], v[4:5] op_sel_hi:[1,0,1]
	v_pk_add_f32 v[6:7], v[6:7], v[14:15]
	v_pk_fma_f32 v[30:31], v[32:33], s[16:17], v[30:31] op_sel_hi:[1,0,1]
	ds_write_b64 v196, v[0:1] offset:5824
	ds_write2_b64 v196, v[6:7], v[30:31] offset0:91 offset1:182
	v_pk_add_f32 v[0:1], v[16:17], v[10:11]
	v_pk_add_f32 v[4:5], v[28:29], v[14:15] neg_lo:[0,1] neg_hi:[0,1]
	v_pk_fma_f32 v[0:1], v[0:1], 0.5, v[2:3] op_sel_hi:[1,0,1] neg_lo:[1,0,0] neg_hi:[1,0,0]
	v_pk_mul_f32 v[6:7], v[4:5], s[0:1] op_sel_hi:[1,0]
	v_pk_add_f32 v[8:9], v[16:17], v[10:11] neg_lo:[0,1] neg_hi:[0,1]
	v_pk_add_f32 v[18:19], v[28:29], v[16:17] neg_lo:[0,1] neg_hi:[0,1]
	;; [unrolled: 1-line block ×3, first 2 shown]
	v_pk_mul_f32 v[12:13], v[8:9], s[6:7] op_sel_hi:[1,0]
	v_pk_add_f32 v[18:19], v[18:19], v[20:21]
	v_pk_add_f32 v[20:21], v[0:1], v[6:7] op_sel:[0,1] op_sel_hi:[1,0] neg_lo:[0,1] neg_hi:[0,1]
	v_pk_add_f32 v[0:1], v[0:1], v[6:7] op_sel:[0,1] op_sel_hi:[1,0]
	v_pk_add_f32 v[6:7], v[20:21], v[12:13] op_sel:[0,1] op_sel_hi:[1,0] neg_lo:[0,1] neg_hi:[0,1]
	v_pk_add_f32 v[20:21], v[28:29], v[14:15]
	v_pk_mul_f32 v[8:9], v[8:9], s[0:1] op_sel_hi:[1,0]
	v_pk_fma_f32 v[2:3], v[20:21], 0.5, v[2:3] op_sel_hi:[1,0,1] neg_lo:[1,0,0] neg_hi:[1,0,0]
	v_pk_add_f32 v[10:11], v[10:11], v[14:15] neg_lo:[0,1] neg_hi:[0,1]
	v_pk_mul_f32 v[4:5], v[4:5], s[6:7] op_sel_hi:[1,0]
	v_pk_add_f32 v[14:15], v[2:3], v[8:9] op_sel:[0,1] op_sel_hi:[1,0]
	v_pk_add_f32 v[2:3], v[2:3], v[8:9] op_sel:[0,1] op_sel_hi:[1,0] neg_lo:[0,1] neg_hi:[0,1]
	v_pk_add_f32 v[0:1], v[0:1], v[12:13] op_sel:[0,1] op_sel_hi:[1,0]
	v_pk_add_f32 v[16:17], v[16:17], v[28:29] neg_lo:[0,1] neg_hi:[0,1]
	v_pk_add_f32 v[2:3], v[2:3], v[4:5] op_sel:[0,1] op_sel_hi:[1,0]
	v_pk_add_f32 v[4:5], v[14:15], v[4:5] op_sel:[0,1] op_sel_hi:[1,0] neg_lo:[0,1] neg_hi:[0,1]
	v_mov_b32_e32 v12, v6
	v_mov_b32_e32 v13, v1
	v_pk_add_f32 v[10:11], v[16:17], v[10:11]
	v_mov_b32_e32 v8, v4
	v_mov_b32_e32 v9, v3
	v_pk_fma_f32 v[12:13], v[18:19], s[16:17], v[12:13] op_sel_hi:[1,0,1]
	v_pk_fma_f32 v[8:9], v[10:11], s[16:17], v[8:9] op_sel_hi:[1,0,1]
	v_add_u32_e32 v1, 0x400, v71
	ds_write2_b64 v1, v[12:13], v[8:9] offset0:54 offset1:236
	v_mov_b32_e32 v3, v5
	v_mov_b32_e32 v1, v7
	v_pk_fma_f32 v[2:3], v[10:11], s[16:17], v[2:3] op_sel_hi:[1,0,1]
	v_pk_fma_f32 v[0:1], v[18:19], s[16:17], v[0:1] op_sel_hi:[1,0,1]
	v_add_u32_e32 v4, 0x1000, v71
	ds_write2_b64 v4, v[2:3], v[0:1] offset0:34 offset1:216
	s_waitcnt lgkmcnt(0)
	s_barrier
	s_and_b64 exec, exec, s[4:5]
	s_cbranch_execz .LBB0_25
; %bb.24:
	global_load_dwordx2 v[8:9], v70, s[12:13]
	global_load_dwordx2 v[10:11], v70, s[12:13] offset:560
	global_load_dwordx2 v[12:13], v70, s[12:13] offset:1120
	;; [unrolled: 1-line block ×4, first 2 shown]
	ds_read_b64 v[20:21], v196
	ds_read2_b64 v[0:3], v196 offset0:70 offset1:140
	global_load_dwordx2 v[26:27], v70, s[12:13] offset:2800
	global_load_dwordx2 v[28:29], v70, s[12:13] offset:3360
	;; [unrolled: 1-line block ×3, first 2 shown]
	v_add_u32_e32 v4, 0x400, v196
	ds_read2_b64 v[4:7], v4 offset0:82 offset1:152
	v_mad_u64_u32 v[18:19], s[0:1], s10, v68, 0
	v_mov_b32_e32 v71, 0
	v_mad_u64_u32 v[24:25], s[4:5], s8, v66, 0
	v_mov_b32_e32 v32, v19
	v_lshl_add_u64 v[34:35], s[12:13], 0, v[70:71]
	v_mov_b32_e32 v36, v25
	v_mad_u64_u32 v[32:33], s[4:5], s11, v68, v[32:33]
	v_mad_u64_u32 v[36:37], s[4:5], s9, v66, v[36:37]
	v_add_co_u32_e32 v34, vcc, s2, v34
	v_mov_b32_e32 v19, v32
	s_nop 0
	v_addc_co_u32_e32 v35, vcc, 0, v35, vcc
	v_mov_b32_e32 v16, s14
	v_mov_b32_e32 v17, s15
	;; [unrolled: 1-line block ×3, first 2 shown]
	v_lshl_add_u64 v[16:17], v[18:19], 3, v[16:17]
	s_mov_b32 s0, 0x12012012
	v_mov_b32_e32 v38, 0x230
	v_lshl_add_u64 v[16:17], v[24:25], 3, v[16:17]
	s_mov_b32 s1, 0x3f520120
	s_mul_i32 s3, s9, 0x230
	v_mad_u64_u32 v[18:19], s[4:5], s8, v38, v[16:17]
	v_add_u32_e32 v19, s3, v19
	v_mad_u64_u32 v[24:25], s[4:5], s8, v38, v[18:19]
	v_add_u32_e32 v25, s3, v25
	s_waitcnt vmcnt(7) lgkmcnt(2)
	v_mul_f32_e32 v32, v21, v9
	s_waitcnt vmcnt(6) lgkmcnt(1)
	v_mul_f32_e32 v33, v1, v11
	v_mul_f32_e32 v9, v20, v9
	;; [unrolled: 1-line block ×3, first 2 shown]
	s_waitcnt vmcnt(4) lgkmcnt(0)
	v_mul_f32_e32 v37, v5, v15
	v_mul_f32_e32 v15, v4, v15
	v_fmac_f32_e32 v32, v20, v8
	v_fmac_f32_e32 v33, v0, v10
	v_fma_f32 v8, v8, v21, -v9
	v_fma_f32 v9, v10, v1, -v11
	v_fmac_f32_e32 v37, v4, v14
	v_fma_f32 v20, v14, v5, -v15
	v_cvt_f64_f32_e32 v[0:1], v32
	v_cvt_f64_f32_e32 v[4:5], v33
	global_load_dwordx2 v[32:33], v[34:35], off offset:384
	v_mul_f32_e32 v36, v3, v13
	v_mul_f32_e32 v13, v2, v13
	v_fmac_f32_e32 v36, v2, v12
	v_fma_f32 v12, v12, v3, -v13
	v_cvt_f64_f32_e32 v[2:3], v8
	v_cvt_f64_f32_e32 v[8:9], v9
	;; [unrolled: 1-line block ×4, first 2 shown]
	v_mul_f64 v[0:1], v[0:1], s[0:1]
	v_mul_f64 v[2:3], v[2:3], s[0:1]
	v_cvt_f64_f32_e32 v[20:21], v20
	v_mul_f64 v[4:5], v[4:5], s[0:1]
	v_mul_f64 v[8:9], v[8:9], s[0:1]
	;; [unrolled: 1-line block ×4, first 2 shown]
	v_cvt_f32_f64_e32 v0, v[0:1]
	v_cvt_f32_f64_e32 v1, v[2:3]
	;; [unrolled: 1-line block ×6, first 2 shown]
	global_store_dwordx2 v[16:17], v[0:1], off
	global_store_dwordx2 v[18:19], v[2:3], off
	;; [unrolled: 1-line block ×3, first 2 shown]
	v_mul_f64 v[0:1], v[20:21], s[0:1]
	v_cvt_f32_f64_e32 v9, v[0:1]
	global_load_dwordx2 v[10:11], v[34:35], off offset:944
	s_waitcnt vmcnt(8)
	v_mul_f32_e32 v0, v7, v23
	v_cvt_f64_f32_e32 v[14:15], v37
	v_fmac_f32_e32 v0, v6, v22
	v_mul_f64 v[14:15], v[14:15], s[0:1]
	v_mad_u64_u32 v[4:5], s[4:5], s8, v38, v[24:25]
	v_cvt_f64_f32_e32 v[0:1], v0
	v_cvt_f32_f64_e32 v8, v[14:15]
	v_add_u32_e32 v5, s3, v5
	v_mul_f64 v[0:1], v[0:1], s[0:1]
	global_store_dwordx2 v[4:5], v[8:9], off
	v_cvt_f32_f64_e32 v8, v[0:1]
	v_mul_f32_e32 v0, v6, v23
	v_fma_f32 v0, v22, v7, -v0
	global_load_dwordx2 v[6:7], v[34:35], off offset:1504
	global_load_dwordx2 v[12:13], v[34:35], off offset:2064
	v_cvt_f64_f32_e32 v[0:1], v0
	v_mul_f64 v[0:1], v[0:1], s[0:1]
	v_cvt_f32_f64_e32 v9, v[0:1]
	v_add_u32_e32 v0, 0x800, v196
	ds_read2_b64 v[0:3], v0 offset0:94 offset1:164
	v_mad_u64_u32 v[4:5], s[4:5], s8, v38, v[4:5]
	v_add_u32_e32 v5, s3, v5
	global_store_dwordx2 v[4:5], v[8:9], off
	s_waitcnt vmcnt(11) lgkmcnt(0)
	v_mul_f32_e32 v8, v1, v27
	v_fmac_f32_e32 v8, v0, v26
	v_mul_f32_e32 v0, v0, v27
	v_fma_f32 v0, v26, v1, -v0
	v_cvt_f64_f32_e32 v[8:9], v8
	v_cvt_f64_f32_e32 v[0:1], v0
	v_mul_f64 v[8:9], v[8:9], s[0:1]
	v_mul_f64 v[0:1], v[0:1], s[0:1]
	v_cvt_f32_f64_e32 v8, v[8:9]
	v_cvt_f32_f64_e32 v9, v[0:1]
	s_waitcnt vmcnt(10)
	v_mul_f32_e32 v0, v3, v29
	v_fmac_f32_e32 v0, v2, v28
	v_mad_u64_u32 v[4:5], s[4:5], s8, v38, v[4:5]
	v_cvt_f64_f32_e32 v[0:1], v0
	v_add_u32_e32 v5, s3, v5
	v_mul_f64 v[0:1], v[0:1], s[0:1]
	global_store_dwordx2 v[4:5], v[8:9], off
	v_cvt_f32_f64_e32 v8, v[0:1]
	v_mul_f32_e32 v0, v2, v29
	v_fma_f32 v0, v28, v3, -v0
	v_cvt_f64_f32_e32 v[0:1], v0
	v_mul_f64 v[0:1], v[0:1], s[0:1]
	v_cvt_f32_f64_e32 v9, v[0:1]
	v_add_u32_e32 v0, 0xc00, v196
	ds_read2_b64 v[0:3], v0 offset0:106 offset1:176
	v_mad_u64_u32 v[4:5], s[4:5], s8, v38, v[4:5]
	v_add_u32_e32 v5, s3, v5
	global_store_dwordx2 v[4:5], v[8:9], off
	s_waitcnt vmcnt(11) lgkmcnt(0)
	v_mul_f32_e32 v8, v1, v31
	v_fmac_f32_e32 v8, v0, v30
	v_mul_f32_e32 v0, v0, v31
	v_fma_f32 v0, v30, v1, -v0
	v_cvt_f64_f32_e32 v[8:9], v8
	v_cvt_f64_f32_e32 v[0:1], v0
	v_mul_f64 v[8:9], v[8:9], s[0:1]
	v_mul_f64 v[0:1], v[0:1], s[0:1]
	v_cvt_f32_f64_e32 v8, v[8:9]
	v_cvt_f32_f64_e32 v9, v[0:1]
	s_waitcnt vmcnt(10)
	v_mul_f32_e32 v0, v3, v33
	v_fmac_f32_e32 v0, v2, v32
	v_mad_u64_u32 v[4:5], s[4:5], s8, v38, v[4:5]
	v_cvt_f64_f32_e32 v[0:1], v0
	v_add_u32_e32 v5, s3, v5
	v_mul_f64 v[0:1], v[0:1], s[0:1]
	global_store_dwordx2 v[4:5], v[8:9], off
	v_cvt_f32_f64_e32 v8, v[0:1]
	v_mul_f32_e32 v0, v2, v33
	v_fma_f32 v0, v32, v3, -v0
	;; [unrolled: 30-line block ×3, first 2 shown]
	v_cvt_f64_f32_e32 v[0:1], v0
	v_mul_f64 v[0:1], v[0:1], s[0:1]
	v_cvt_f32_f64_e32 v9, v[0:1]
	v_add_u32_e32 v0, 0x1800, v196
	ds_read2_b64 v[0:3], v0 offset0:2 offset1:72
	v_mad_u64_u32 v[4:5], s[4:5], s8, v38, v[4:5]
	v_add_u32_e32 v5, s3, v5
	global_store_dwordx2 v[4:5], v[8:9], off
	s_waitcnt vmcnt(7) lgkmcnt(0)
	v_mul_f32_e32 v6, v1, v13
	v_fmac_f32_e32 v6, v0, v12
	v_mul_f32_e32 v0, v0, v13
	v_fma_f32 v0, v12, v1, -v0
	v_cvt_f64_f32_e32 v[6:7], v6
	v_cvt_f64_f32_e32 v[0:1], v0
	v_mul_f64 v[6:7], v[6:7], s[0:1]
	v_mul_f64 v[0:1], v[0:1], s[0:1]
	v_cvt_f32_f64_e32 v6, v[6:7]
	v_cvt_f32_f64_e32 v7, v[0:1]
	v_mad_u64_u32 v[0:1], s[4:5], s8, v38, v[4:5]
	v_add_u32_e32 v1, s3, v1
	global_store_dwordx2 v[0:1], v[6:7], off
	global_load_dwordx2 v[4:5], v[34:35], off offset:2624
	s_waitcnt vmcnt(0)
	v_mul_f32_e32 v6, v3, v5
	v_fmac_f32_e32 v6, v2, v4
	v_mul_f32_e32 v2, v2, v5
	v_fma_f32 v2, v4, v3, -v2
	v_cvt_f64_f32_e32 v[6:7], v6
	v_cvt_f64_f32_e32 v[2:3], v2
	v_mul_f64 v[6:7], v[6:7], s[0:1]
	v_mul_f64 v[2:3], v[2:3], s[0:1]
	v_mad_u64_u32 v[0:1], s[0:1], s8, v38, v[0:1]
	v_cvt_f32_f64_e32 v6, v[6:7]
	v_cvt_f32_f64_e32 v7, v[2:3]
	v_add_u32_e32 v1, s3, v1
	global_store_dwordx2 v[0:1], v[6:7], off
.LBB0_25:
	s_endpgm
	.section	.rodata,"a",@progbits
	.p2align	6, 0x0
	.amdhsa_kernel bluestein_single_back_len910_dim1_sp_op_CI_CI
		.amdhsa_group_segment_fixed_size 14560
		.amdhsa_private_segment_fixed_size 0
		.amdhsa_kernarg_size 104
		.amdhsa_user_sgpr_count 2
		.amdhsa_user_sgpr_dispatch_ptr 0
		.amdhsa_user_sgpr_queue_ptr 0
		.amdhsa_user_sgpr_kernarg_segment_ptr 1
		.amdhsa_user_sgpr_dispatch_id 0
		.amdhsa_user_sgpr_kernarg_preload_length 0
		.amdhsa_user_sgpr_kernarg_preload_offset 0
		.amdhsa_user_sgpr_private_segment_size 0
		.amdhsa_uses_dynamic_stack 0
		.amdhsa_enable_private_segment 0
		.amdhsa_system_sgpr_workgroup_id_x 1
		.amdhsa_system_sgpr_workgroup_id_y 0
		.amdhsa_system_sgpr_workgroup_id_z 0
		.amdhsa_system_sgpr_workgroup_info 0
		.amdhsa_system_vgpr_workitem_id 0
		.amdhsa_next_free_vgpr 242
		.amdhsa_next_free_sgpr 52
		.amdhsa_accum_offset 244
		.amdhsa_reserve_vcc 1
		.amdhsa_float_round_mode_32 0
		.amdhsa_float_round_mode_16_64 0
		.amdhsa_float_denorm_mode_32 3
		.amdhsa_float_denorm_mode_16_64 3
		.amdhsa_dx10_clamp 1
		.amdhsa_ieee_mode 1
		.amdhsa_fp16_overflow 0
		.amdhsa_tg_split 0
		.amdhsa_exception_fp_ieee_invalid_op 0
		.amdhsa_exception_fp_denorm_src 0
		.amdhsa_exception_fp_ieee_div_zero 0
		.amdhsa_exception_fp_ieee_overflow 0
		.amdhsa_exception_fp_ieee_underflow 0
		.amdhsa_exception_fp_ieee_inexact 0
		.amdhsa_exception_int_div_zero 0
	.end_amdhsa_kernel
	.text
.Lfunc_end0:
	.size	bluestein_single_back_len910_dim1_sp_op_CI_CI, .Lfunc_end0-bluestein_single_back_len910_dim1_sp_op_CI_CI
                                        ; -- End function
	.section	.AMDGPU.csdata,"",@progbits
; Kernel info:
; codeLenInByte = 15288
; NumSgprs: 58
; NumVgprs: 242
; NumAgprs: 0
; TotalNumVgprs: 242
; ScratchSize: 0
; MemoryBound: 0
; FloatMode: 240
; IeeeMode: 1
; LDSByteSize: 14560 bytes/workgroup (compile time only)
; SGPRBlocks: 7
; VGPRBlocks: 30
; NumSGPRsForWavesPerEU: 58
; NumVGPRsForWavesPerEU: 242
; AccumOffset: 244
; Occupancy: 2
; WaveLimiterHint : 1
; COMPUTE_PGM_RSRC2:SCRATCH_EN: 0
; COMPUTE_PGM_RSRC2:USER_SGPR: 2
; COMPUTE_PGM_RSRC2:TRAP_HANDLER: 0
; COMPUTE_PGM_RSRC2:TGID_X_EN: 1
; COMPUTE_PGM_RSRC2:TGID_Y_EN: 0
; COMPUTE_PGM_RSRC2:TGID_Z_EN: 0
; COMPUTE_PGM_RSRC2:TIDIG_COMP_CNT: 0
; COMPUTE_PGM_RSRC3_GFX90A:ACCUM_OFFSET: 60
; COMPUTE_PGM_RSRC3_GFX90A:TG_SPLIT: 0
	.text
	.p2alignl 6, 3212836864
	.fill 256, 4, 3212836864
	.type	__hip_cuid_c8d990010936c613,@object ; @__hip_cuid_c8d990010936c613
	.section	.bss,"aw",@nobits
	.globl	__hip_cuid_c8d990010936c613
__hip_cuid_c8d990010936c613:
	.byte	0                               ; 0x0
	.size	__hip_cuid_c8d990010936c613, 1

	.ident	"AMD clang version 19.0.0git (https://github.com/RadeonOpenCompute/llvm-project roc-6.4.0 25133 c7fe45cf4b819c5991fe208aaa96edf142730f1d)"
	.section	".note.GNU-stack","",@progbits
	.addrsig
	.addrsig_sym __hip_cuid_c8d990010936c613
	.amdgpu_metadata
---
amdhsa.kernels:
  - .agpr_count:     0
    .args:
      - .actual_access:  read_only
        .address_space:  global
        .offset:         0
        .size:           8
        .value_kind:     global_buffer
      - .actual_access:  read_only
        .address_space:  global
        .offset:         8
        .size:           8
        .value_kind:     global_buffer
      - .actual_access:  read_only
        .address_space:  global
        .offset:         16
        .size:           8
        .value_kind:     global_buffer
      - .actual_access:  read_only
        .address_space:  global
        .offset:         24
        .size:           8
        .value_kind:     global_buffer
      - .actual_access:  read_only
        .address_space:  global
        .offset:         32
        .size:           8
        .value_kind:     global_buffer
      - .offset:         40
        .size:           8
        .value_kind:     by_value
      - .address_space:  global
        .offset:         48
        .size:           8
        .value_kind:     global_buffer
      - .address_space:  global
        .offset:         56
        .size:           8
        .value_kind:     global_buffer
      - .address_space:  global
        .offset:         64
        .size:           8
        .value_kind:     global_buffer
      - .address_space:  global
        .offset:         72
        .size:           8
        .value_kind:     global_buffer
      - .offset:         80
        .size:           4
        .value_kind:     by_value
      - .address_space:  global
        .offset:         88
        .size:           8
        .value_kind:     global_buffer
      - .address_space:  global
        .offset:         96
        .size:           8
        .value_kind:     global_buffer
    .group_segment_fixed_size: 14560
    .kernarg_segment_align: 8
    .kernarg_segment_size: 104
    .language:       OpenCL C
    .language_version:
      - 2
      - 0
    .max_flat_workgroup_size: 182
    .name:           bluestein_single_back_len910_dim1_sp_op_CI_CI
    .private_segment_fixed_size: 0
    .sgpr_count:     58
    .sgpr_spill_count: 0
    .symbol:         bluestein_single_back_len910_dim1_sp_op_CI_CI.kd
    .uniform_work_group_size: 1
    .uses_dynamic_stack: false
    .vgpr_count:     242
    .vgpr_spill_count: 0
    .wavefront_size: 64
amdhsa.target:   amdgcn-amd-amdhsa--gfx950
amdhsa.version:
  - 1
  - 2
...

	.end_amdgpu_metadata
